;; amdgpu-corpus repo=ROCm/rocFFT kind=compiled arch=gfx1201 opt=O3
	.text
	.amdgcn_target "amdgcn-amd-amdhsa--gfx1201"
	.amdhsa_code_object_version 6
	.protected	fft_rtc_back_len1540_factors_11_2_7_5_2_wgs_154_tpt_154_halfLds_sp_ip_CI_sbrr_dirReg ; -- Begin function fft_rtc_back_len1540_factors_11_2_7_5_2_wgs_154_tpt_154_halfLds_sp_ip_CI_sbrr_dirReg
	.globl	fft_rtc_back_len1540_factors_11_2_7_5_2_wgs_154_tpt_154_halfLds_sp_ip_CI_sbrr_dirReg
	.p2align	8
	.type	fft_rtc_back_len1540_factors_11_2_7_5_2_wgs_154_tpt_154_halfLds_sp_ip_CI_sbrr_dirReg,@function
fft_rtc_back_len1540_factors_11_2_7_5_2_wgs_154_tpt_154_halfLds_sp_ip_CI_sbrr_dirReg: ; @fft_rtc_back_len1540_factors_11_2_7_5_2_wgs_154_tpt_154_halfLds_sp_ip_CI_sbrr_dirReg
; %bb.0:
	s_clause 0x2
	s_load_b64 s[12:13], s[0:1], 0x18
	s_load_b128 s[4:7], s[0:1], 0x0
	s_load_b64 s[10:11], s[0:1], 0x50
	v_mul_u32_u24_e32 v1, 0x1aa, v0
	v_mov_b32_e32 v3, 0
	s_delay_alu instid0(VALU_DEP_2) | instskip(NEXT) | instid1(VALU_DEP_1)
	v_lshrrev_b32_e32 v1, 16, v1
	v_add_nc_u32_e32 v5, ttmp9, v1
	v_mov_b32_e32 v1, 0
	v_mov_b32_e32 v2, 0
	;; [unrolled: 1-line block ×3, first 2 shown]
	s_wait_kmcnt 0x0
	s_load_b64 s[8:9], s[12:13], 0x0
	v_cmp_lt_u64_e64 s2, s[6:7], 2
	s_delay_alu instid0(VALU_DEP_1)
	s_and_b32 vcc_lo, exec_lo, s2
	s_cbranch_vccnz .LBB0_8
; %bb.1:
	s_load_b64 s[2:3], s[0:1], 0x10
	v_mov_b32_e32 v1, 0
	v_mov_b32_e32 v2, 0
	s_add_nc_u64 s[14:15], s[12:13], 8
	s_mov_b64 s[16:17], 1
	s_wait_kmcnt 0x0
	s_add_nc_u64 s[18:19], s[2:3], 8
	s_mov_b32 s3, 0
.LBB0_2:                                ; =>This Inner Loop Header: Depth=1
	s_load_b64 s[20:21], s[18:19], 0x0
                                        ; implicit-def: $vgpr7_vgpr8
	s_mov_b32 s2, exec_lo
	s_wait_kmcnt 0x0
	v_or_b32_e32 v4, s21, v6
	s_delay_alu instid0(VALU_DEP_1)
	v_cmpx_ne_u64_e32 0, v[3:4]
	s_wait_alu 0xfffe
	s_xor_b32 s22, exec_lo, s2
	s_cbranch_execz .LBB0_4
; %bb.3:                                ;   in Loop: Header=BB0_2 Depth=1
	s_cvt_f32_u32 s2, s20
	s_cvt_f32_u32 s23, s21
	s_sub_nc_u64 s[26:27], 0, s[20:21]
	s_wait_alu 0xfffe
	s_delay_alu instid0(SALU_CYCLE_1) | instskip(SKIP_1) | instid1(SALU_CYCLE_2)
	s_fmamk_f32 s2, s23, 0x4f800000, s2
	s_wait_alu 0xfffe
	v_s_rcp_f32 s2, s2
	s_delay_alu instid0(TRANS32_DEP_1) | instskip(SKIP_1) | instid1(SALU_CYCLE_2)
	s_mul_f32 s2, s2, 0x5f7ffffc
	s_wait_alu 0xfffe
	s_mul_f32 s23, s2, 0x2f800000
	s_wait_alu 0xfffe
	s_delay_alu instid0(SALU_CYCLE_2) | instskip(SKIP_1) | instid1(SALU_CYCLE_2)
	s_trunc_f32 s23, s23
	s_wait_alu 0xfffe
	s_fmamk_f32 s2, s23, 0xcf800000, s2
	s_cvt_u32_f32 s25, s23
	s_wait_alu 0xfffe
	s_delay_alu instid0(SALU_CYCLE_1) | instskip(SKIP_1) | instid1(SALU_CYCLE_2)
	s_cvt_u32_f32 s24, s2
	s_wait_alu 0xfffe
	s_mul_u64 s[28:29], s[26:27], s[24:25]
	s_wait_alu 0xfffe
	s_mul_hi_u32 s31, s24, s29
	s_mul_i32 s30, s24, s29
	s_mul_hi_u32 s2, s24, s28
	s_mul_i32 s33, s25, s28
	s_wait_alu 0xfffe
	s_add_nc_u64 s[30:31], s[2:3], s[30:31]
	s_mul_hi_u32 s23, s25, s28
	s_mul_hi_u32 s34, s25, s29
	s_add_co_u32 s2, s30, s33
	s_wait_alu 0xfffe
	s_add_co_ci_u32 s2, s31, s23
	s_mul_i32 s28, s25, s29
	s_add_co_ci_u32 s29, s34, 0
	s_wait_alu 0xfffe
	s_add_nc_u64 s[28:29], s[2:3], s[28:29]
	s_wait_alu 0xfffe
	v_add_co_u32 v4, s2, s24, s28
	s_delay_alu instid0(VALU_DEP_1) | instskip(SKIP_1) | instid1(VALU_DEP_1)
	s_cmp_lg_u32 s2, 0
	s_add_co_ci_u32 s25, s25, s29
	v_readfirstlane_b32 s24, v4
	s_wait_alu 0xfffe
	s_delay_alu instid0(VALU_DEP_1)
	s_mul_u64 s[26:27], s[26:27], s[24:25]
	s_wait_alu 0xfffe
	s_mul_hi_u32 s29, s24, s27
	s_mul_i32 s28, s24, s27
	s_mul_hi_u32 s2, s24, s26
	s_mul_i32 s30, s25, s26
	s_wait_alu 0xfffe
	s_add_nc_u64 s[28:29], s[2:3], s[28:29]
	s_mul_hi_u32 s23, s25, s26
	s_mul_hi_u32 s24, s25, s27
	s_wait_alu 0xfffe
	s_add_co_u32 s2, s28, s30
	s_add_co_ci_u32 s2, s29, s23
	s_mul_i32 s26, s25, s27
	s_add_co_ci_u32 s27, s24, 0
	s_wait_alu 0xfffe
	s_add_nc_u64 s[26:27], s[2:3], s[26:27]
	s_wait_alu 0xfffe
	v_add_co_u32 v4, s2, v4, s26
	s_delay_alu instid0(VALU_DEP_1) | instskip(SKIP_1) | instid1(VALU_DEP_1)
	s_cmp_lg_u32 s2, 0
	s_add_co_ci_u32 s2, s25, s27
	v_mul_hi_u32 v13, v5, v4
	s_wait_alu 0xfffe
	v_mad_co_u64_u32 v[7:8], null, v5, s2, 0
	v_mad_co_u64_u32 v[9:10], null, v6, v4, 0
	;; [unrolled: 1-line block ×3, first 2 shown]
	s_delay_alu instid0(VALU_DEP_3) | instskip(SKIP_1) | instid1(VALU_DEP_4)
	v_add_co_u32 v4, vcc_lo, v13, v7
	s_wait_alu 0xfffd
	v_add_co_ci_u32_e32 v7, vcc_lo, 0, v8, vcc_lo
	s_delay_alu instid0(VALU_DEP_2) | instskip(SKIP_1) | instid1(VALU_DEP_2)
	v_add_co_u32 v4, vcc_lo, v4, v9
	s_wait_alu 0xfffd
	v_add_co_ci_u32_e32 v4, vcc_lo, v7, v10, vcc_lo
	s_wait_alu 0xfffd
	v_add_co_ci_u32_e32 v7, vcc_lo, 0, v12, vcc_lo
	s_delay_alu instid0(VALU_DEP_2) | instskip(SKIP_1) | instid1(VALU_DEP_2)
	v_add_co_u32 v4, vcc_lo, v4, v11
	s_wait_alu 0xfffd
	v_add_co_ci_u32_e32 v9, vcc_lo, 0, v7, vcc_lo
	s_delay_alu instid0(VALU_DEP_2) | instskip(SKIP_1) | instid1(VALU_DEP_3)
	v_mul_lo_u32 v10, s21, v4
	v_mad_co_u64_u32 v[7:8], null, s20, v4, 0
	v_mul_lo_u32 v11, s20, v9
	s_delay_alu instid0(VALU_DEP_2) | instskip(NEXT) | instid1(VALU_DEP_2)
	v_sub_co_u32 v7, vcc_lo, v5, v7
	v_add3_u32 v8, v8, v11, v10
	s_delay_alu instid0(VALU_DEP_1) | instskip(SKIP_1) | instid1(VALU_DEP_1)
	v_sub_nc_u32_e32 v10, v6, v8
	s_wait_alu 0xfffd
	v_subrev_co_ci_u32_e64 v10, s2, s21, v10, vcc_lo
	v_add_co_u32 v11, s2, v4, 2
	s_wait_alu 0xf1ff
	v_add_co_ci_u32_e64 v12, s2, 0, v9, s2
	v_sub_co_u32 v13, s2, v7, s20
	v_sub_co_ci_u32_e32 v8, vcc_lo, v6, v8, vcc_lo
	s_wait_alu 0xf1ff
	v_subrev_co_ci_u32_e64 v10, s2, 0, v10, s2
	s_delay_alu instid0(VALU_DEP_3) | instskip(NEXT) | instid1(VALU_DEP_3)
	v_cmp_le_u32_e32 vcc_lo, s20, v13
	v_cmp_eq_u32_e64 s2, s21, v8
	s_wait_alu 0xfffd
	v_cndmask_b32_e64 v13, 0, -1, vcc_lo
	v_cmp_le_u32_e32 vcc_lo, s21, v10
	s_wait_alu 0xfffd
	v_cndmask_b32_e64 v14, 0, -1, vcc_lo
	v_cmp_le_u32_e32 vcc_lo, s20, v7
	;; [unrolled: 3-line block ×3, first 2 shown]
	s_wait_alu 0xfffd
	v_cndmask_b32_e64 v15, 0, -1, vcc_lo
	v_cmp_eq_u32_e32 vcc_lo, s21, v10
	s_wait_alu 0xf1ff
	s_delay_alu instid0(VALU_DEP_2)
	v_cndmask_b32_e64 v7, v15, v7, s2
	s_wait_alu 0xfffd
	v_cndmask_b32_e32 v10, v14, v13, vcc_lo
	v_add_co_u32 v13, vcc_lo, v4, 1
	s_wait_alu 0xfffd
	v_add_co_ci_u32_e32 v14, vcc_lo, 0, v9, vcc_lo
	s_delay_alu instid0(VALU_DEP_3) | instskip(SKIP_2) | instid1(VALU_DEP_3)
	v_cmp_ne_u32_e32 vcc_lo, 0, v10
	s_wait_alu 0xfffd
	v_cndmask_b32_e32 v10, v13, v11, vcc_lo
	v_cndmask_b32_e32 v8, v14, v12, vcc_lo
	v_cmp_ne_u32_e32 vcc_lo, 0, v7
	s_wait_alu 0xfffd
	s_delay_alu instid0(VALU_DEP_2)
	v_dual_cndmask_b32 v7, v4, v10 :: v_dual_cndmask_b32 v8, v9, v8
.LBB0_4:                                ;   in Loop: Header=BB0_2 Depth=1
	s_wait_alu 0xfffe
	s_and_not1_saveexec_b32 s2, s22
	s_cbranch_execz .LBB0_6
; %bb.5:                                ;   in Loop: Header=BB0_2 Depth=1
	v_cvt_f32_u32_e32 v4, s20
	s_sub_co_i32 s22, 0, s20
	s_delay_alu instid0(VALU_DEP_1) | instskip(NEXT) | instid1(TRANS32_DEP_1)
	v_rcp_iflag_f32_e32 v4, v4
	v_mul_f32_e32 v4, 0x4f7ffffe, v4
	s_delay_alu instid0(VALU_DEP_1) | instskip(SKIP_1) | instid1(VALU_DEP_1)
	v_cvt_u32_f32_e32 v4, v4
	s_wait_alu 0xfffe
	v_mul_lo_u32 v7, s22, v4
	s_delay_alu instid0(VALU_DEP_1) | instskip(NEXT) | instid1(VALU_DEP_1)
	v_mul_hi_u32 v7, v4, v7
	v_add_nc_u32_e32 v4, v4, v7
	s_delay_alu instid0(VALU_DEP_1) | instskip(NEXT) | instid1(VALU_DEP_1)
	v_mul_hi_u32 v4, v5, v4
	v_mul_lo_u32 v7, v4, s20
	v_add_nc_u32_e32 v8, 1, v4
	s_delay_alu instid0(VALU_DEP_2) | instskip(NEXT) | instid1(VALU_DEP_1)
	v_sub_nc_u32_e32 v7, v5, v7
	v_subrev_nc_u32_e32 v9, s20, v7
	v_cmp_le_u32_e32 vcc_lo, s20, v7
	s_wait_alu 0xfffd
	s_delay_alu instid0(VALU_DEP_2) | instskip(NEXT) | instid1(VALU_DEP_1)
	v_dual_cndmask_b32 v7, v7, v9 :: v_dual_cndmask_b32 v4, v4, v8
	v_cmp_le_u32_e32 vcc_lo, s20, v7
	s_delay_alu instid0(VALU_DEP_2) | instskip(SKIP_1) | instid1(VALU_DEP_1)
	v_add_nc_u32_e32 v8, 1, v4
	s_wait_alu 0xfffd
	v_dual_cndmask_b32 v7, v4, v8 :: v_dual_mov_b32 v8, v3
.LBB0_6:                                ;   in Loop: Header=BB0_2 Depth=1
	s_wait_alu 0xfffe
	s_or_b32 exec_lo, exec_lo, s2
	s_load_b64 s[22:23], s[14:15], 0x0
	s_delay_alu instid0(VALU_DEP_1)
	v_mul_lo_u32 v4, v8, s20
	v_mul_lo_u32 v11, v7, s21
	v_mad_co_u64_u32 v[9:10], null, v7, s20, 0
	s_add_nc_u64 s[16:17], s[16:17], 1
	s_add_nc_u64 s[14:15], s[14:15], 8
	s_wait_alu 0xfffe
	v_cmp_ge_u64_e64 s2, s[16:17], s[6:7]
	s_add_nc_u64 s[18:19], s[18:19], 8
	s_delay_alu instid0(VALU_DEP_2) | instskip(NEXT) | instid1(VALU_DEP_3)
	v_add3_u32 v4, v10, v11, v4
	v_sub_co_u32 v5, vcc_lo, v5, v9
	s_wait_alu 0xfffd
	s_delay_alu instid0(VALU_DEP_2) | instskip(SKIP_3) | instid1(VALU_DEP_2)
	v_sub_co_ci_u32_e32 v4, vcc_lo, v6, v4, vcc_lo
	s_and_b32 vcc_lo, exec_lo, s2
	s_wait_kmcnt 0x0
	v_mul_lo_u32 v6, s23, v5
	v_mul_lo_u32 v4, s22, v4
	v_mad_co_u64_u32 v[1:2], null, s22, v5, v[1:2]
	s_delay_alu instid0(VALU_DEP_1)
	v_add3_u32 v2, v6, v2, v4
	s_wait_alu 0xfffe
	s_cbranch_vccnz .LBB0_9
; %bb.7:                                ;   in Loop: Header=BB0_2 Depth=1
	v_dual_mov_b32 v5, v7 :: v_dual_mov_b32 v6, v8
	s_branch .LBB0_2
.LBB0_8:
	v_dual_mov_b32 v8, v6 :: v_dual_mov_b32 v7, v5
.LBB0_9:
	s_lshl_b64 s[2:3], s[6:7], 3
	v_mul_hi_u32 v3, 0x1a98ef7, v0
	s_wait_alu 0xfffe
	s_add_nc_u64 s[2:3], s[12:13], s[2:3]
                                        ; implicit-def: $vgpr14
                                        ; implicit-def: $vgpr12
                                        ; implicit-def: $vgpr10
                                        ; implicit-def: $vgpr33
                                        ; implicit-def: $vgpr31
                                        ; implicit-def: $vgpr29
                                        ; implicit-def: $vgpr27
                                        ; implicit-def: $vgpr25
                                        ; implicit-def: $vgpr21
                                        ; implicit-def: $vgpr23
	s_load_b64 s[2:3], s[2:3], 0x0
	s_load_b64 s[0:1], s[0:1], 0x20
	s_delay_alu instid0(VALU_DEP_1) | instskip(NEXT) | instid1(VALU_DEP_1)
	v_mul_u32_u24_e32 v3, 0x9a, v3
	v_sub_nc_u32_e32 v0, v0, v3
	s_wait_kmcnt 0x0
	v_mul_lo_u32 v4, s2, v8
	v_mul_lo_u32 v5, s3, v7
	v_mad_co_u64_u32 v[1:2], null, s2, v7, v[1:2]
	v_cmp_gt_u64_e32 vcc_lo, s[0:1], v[7:8]
	v_cmp_gt_u32_e64 s0, 0x8c, v0
	v_dual_mov_b32 v8, 0 :: v_dual_mov_b32 v7, 0
	s_delay_alu instid0(VALU_DEP_4) | instskip(NEXT) | instid1(VALU_DEP_3)
	v_add3_u32 v2, v5, v2, v4
	s_and_b32 s1, vcc_lo, s0
	s_delay_alu instid0(VALU_DEP_1)
	v_lshlrev_b64_e32 v[2:3], 3, v[1:2]
	s_wait_alu 0xfffe
	s_and_saveexec_b32 s2, s1
	s_cbranch_execz .LBB0_11
; %bb.10:
	v_mad_co_u64_u32 v[4:5], null, s8, v0, 0
	v_add_nc_u32_e32 v12, 0x8c, v0
	v_add_nc_u32_e32 v15, 0x1a4, v0
	v_add_co_u32 v30, s1, s10, v2
	s_wait_alu 0xf1ff
	v_add_co_ci_u32_e64 v31, s1, s11, v3, s1
	v_mov_b32_e32 v1, v5
	v_mad_co_u64_u32 v[6:7], null, s8, v12, 0
	v_add_nc_u32_e32 v14, 0x118, v0
	v_add_nc_u32_e32 v22, 0x2bc, v0
	s_delay_alu instid0(VALU_DEP_4) | instskip(SKIP_4) | instid1(VALU_DEP_3)
	v_mad_co_u64_u32 v[10:11], null, s9, v0, v[1:2]
	v_add_nc_u32_e32 v24, 0x348, v0
	v_dual_mov_b32 v5, v7 :: v_dual_add_nc_u32 v28, 0x4ec, v0
	v_mad_co_u64_u32 v[8:9], null, s8, v14, 0
	v_mad_co_u64_u32 v[19:20], null, s8, v22, 0
	;; [unrolled: 1-line block ×4, first 2 shown]
	s_delay_alu instid0(VALU_DEP_4) | instskip(SKIP_1) | instid1(VALU_DEP_4)
	v_mov_b32_e32 v1, v9
	v_dual_mov_b32 v5, v10 :: v_dual_add_nc_u32 v32, 0x578, v0
	v_mov_b32_e32 v7, v11
	s_delay_alu instid0(VALU_DEP_3) | instskip(SKIP_1) | instid1(VALU_DEP_4)
	v_mad_co_u64_u32 v[9:10], null, s9, v14, v[1:2]
	v_dual_mov_b32 v1, v13 :: v_dual_add_nc_u32 v14, 0x230, v0
	v_lshlrev_b64_e32 v[4:5], 3, v[4:5]
	s_delay_alu instid0(VALU_DEP_4) | instskip(NEXT) | instid1(VALU_DEP_3)
	v_lshlrev_b64_e32 v[6:7], 3, v[6:7]
	v_mad_co_u64_u32 v[10:11], null, s9, v15, v[1:2]
	s_delay_alu instid0(VALU_DEP_4) | instskip(NEXT) | instid1(VALU_DEP_4)
	v_mad_co_u64_u32 v[15:16], null, s8, v14, 0
	v_add_co_u32 v4, s1, v30, v4
	s_wait_alu 0xf1ff
	v_add_co_ci_u32_e64 v5, s1, v31, v5, s1
	v_add_co_u32 v17, s1, v30, v6
	v_mov_b32_e32 v13, v10
	s_wait_alu 0xf1ff
	v_add_co_ci_u32_e64 v18, s1, v31, v7, s1
	v_lshlrev_b64_e32 v[6:7], 3, v[8:9]
	v_mov_b32_e32 v1, v16
	v_lshlrev_b64_e32 v[8:9], 3, v[12:13]
	s_delay_alu instid0(VALU_DEP_2)
	v_mad_co_u64_u32 v[10:11], null, s9, v14, v[1:2]
	v_mov_b32_e32 v1, v20
	v_add_co_u32 v11, s1, v30, v6
	s_wait_alu 0xf1ff
	v_add_co_ci_u32_e64 v12, s1, v31, v7, s1
	v_add_co_u32 v20, s1, v30, v8
	v_mad_co_u64_u32 v[6:7], null, s9, v22, v[1:2]
	v_mad_co_u64_u32 v[22:23], null, s8, v24, 0
	s_wait_alu 0xf1ff
	v_add_co_ci_u32_e64 v21, s1, v31, v9, s1
	v_mov_b32_e32 v16, v10
	s_clause 0x3
	global_load_b64 v[7:8], v[4:5], off
	global_load_b64 v[13:14], v[17:18], off
	;; [unrolled: 1-line block ×4, first 2 shown]
	v_dual_mov_b32 v20, v6 :: v_dual_add_nc_u32 v21, 0x3d4, v0
	v_mov_b32_e32 v1, v23
	v_lshlrev_b64_e32 v[4:5], 3, v[15:16]
	v_add_nc_u32_e32 v6, 0x460, v0
	s_delay_alu instid0(VALU_DEP_4) | instskip(NEXT) | instid1(VALU_DEP_4)
	v_mad_co_u64_u32 v[15:16], null, s8, v21, 0
	v_mad_co_u64_u32 v[17:18], null, s9, v24, v[1:2]
	s_delay_alu instid0(VALU_DEP_3)
	v_mad_co_u64_u32 v[24:25], null, s8, v6, 0
	v_lshlrev_b64_e32 v[18:19], 3, v[19:20]
	v_add_co_u32 v4, s1, v30, v4
	v_mov_b32_e32 v1, v16
	v_mov_b32_e32 v23, v17
	s_wait_alu 0xf1ff
	v_add_co_ci_u32_e64 v5, s1, v31, v5, s1
	s_delay_alu instid0(VALU_DEP_3) | instskip(SKIP_3) | instid1(VALU_DEP_3)
	v_mad_co_u64_u32 v[16:17], null, s9, v21, v[1:2]
	v_mov_b32_e32 v1, v25
	v_mad_co_u64_u32 v[20:21], null, s8, v28, 0
	v_add_co_u32 v17, s1, v30, v18
	v_mad_co_u64_u32 v[25:26], null, s9, v6, v[1:2]
	v_mad_co_u64_u32 v[26:27], null, s8, v32, 0
	s_delay_alu instid0(VALU_DEP_4)
	v_mov_b32_e32 v1, v21
	v_lshlrev_b64_e32 v[21:22], 3, v[22:23]
	s_wait_alu 0xf1ff
	v_add_co_ci_u32_e64 v18, s1, v31, v19, s1
	v_lshlrev_b64_e32 v[15:16], 3, v[15:16]
	v_mad_co_u64_u32 v[28:29], null, s9, v28, v[1:2]
	v_mov_b32_e32 v1, v27
	v_add_co_u32 v34, s1, v30, v21
	s_wait_alu 0xf1ff
	v_add_co_ci_u32_e64 v35, s1, v31, v22, s1
	s_delay_alu instid0(VALU_DEP_3)
	v_mad_co_u64_u32 v[22:23], null, s9, v32, v[1:2]
	v_lshlrev_b64_e32 v[23:24], 3, v[24:25]
	v_mov_b32_e32 v21, v28
	v_add_co_u32 v15, s1, v30, v15
	s_wait_alu 0xf1ff
	v_add_co_ci_u32_e64 v16, s1, v31, v16, s1
	v_mov_b32_e32 v27, v22
	v_lshlrev_b64_e32 v[19:20], 3, v[20:21]
	v_add_co_u32 v21, s1, v30, v23
	s_wait_alu 0xf1ff
	v_add_co_ci_u32_e64 v22, s1, v31, v24, s1
	v_lshlrev_b64_e32 v[23:24], 3, v[26:27]
	s_delay_alu instid0(VALU_DEP_4) | instskip(SKIP_2) | instid1(VALU_DEP_3)
	v_add_co_u32 v19, s1, v30, v19
	s_wait_alu 0xf1ff
	v_add_co_ci_u32_e64 v20, s1, v31, v20, s1
	v_add_co_u32 v36, s1, v30, v23
	s_wait_alu 0xf1ff
	v_add_co_ci_u32_e64 v37, s1, v31, v24, s1
	s_clause 0x6
	global_load_b64 v[32:33], v[4:5], off
	global_load_b64 v[30:31], v[17:18], off
	;; [unrolled: 1-line block ×7, first 2 shown]
.LBB0_11:
	s_wait_alu 0xfffe
	s_or_b32 exec_lo, exec_lo, s2
	s_wait_loadcnt 0x0
	v_dual_sub_f32 v1, v14, v23 :: v_dual_sub_f32 v4, v12, v21
	v_dual_add_f32 v39, v13, v22 :: v_dual_add_f32 v40, v11, v20
	v_dual_sub_f32 v6, v10, v25 :: v_dual_sub_f32 v15, v33, v27
	s_delay_alu instid0(VALU_DEP_3) | instskip(SKIP_1) | instid1(VALU_DEP_3)
	v_dual_mul_f32 v17, 0xbf0a6770, v1 :: v_dual_add_f32 v38, v9, v24
	v_dual_add_f32 v37, v32, v26 :: v_dual_add_f32 v36, v30, v28
	v_mul_f32_e32 v19, 0xbf4178ce, v15
	s_delay_alu instid0(VALU_DEP_3) | instskip(NEXT) | instid1(VALU_DEP_1)
	v_fma_f32 v5, 0x3f575c64, v39, -v17
	v_dual_mul_f32 v18, 0xbf68dda4, v4 :: v_dual_add_f32 v5, v7, v5
	s_delay_alu instid0(VALU_DEP_1) | instskip(NEXT) | instid1(VALU_DEP_1)
	v_fma_f32 v16, 0x3ed4b147, v40, -v18
	v_dual_mul_f32 v34, 0xbf7d64f0, v6 :: v_dual_add_f32 v5, v16, v5
	s_delay_alu instid0(VALU_DEP_1) | instskip(SKIP_2) | instid1(VALU_DEP_3)
	v_fma_f32 v35, 0xbe11bafb, v38, -v34
	v_sub_f32_e32 v16, v31, v29
	v_fma_f32 v41, 0xbf27a4f4, v37, -v19
	v_add_f32_e32 v5, v35, v5
	s_delay_alu instid0(VALU_DEP_3) | instskip(NEXT) | instid1(VALU_DEP_2)
	v_mul_f32_e32 v35, 0xbe903f40, v16
	v_add_f32_e32 v5, v41, v5
	s_delay_alu instid0(VALU_DEP_2) | instskip(NEXT) | instid1(VALU_DEP_1)
	v_fma_f32 v41, 0xbf75a155, v36, -v35
	v_add_f32_e32 v5, v41, v5
	s_and_saveexec_b32 s1, s0
	s_cbranch_execz .LBB0_13
; %bb.12:
	v_dual_mul_f32 v41, 0xbf75a155, v39 :: v_dual_mul_f32 v48, 0xbf75a155, v36
	v_dual_mul_f32 v42, 0x3f575c64, v39 :: v_dual_mul_f32 v45, 0x3f575c64, v40
	v_mul_f32_e32 v49, 0xbf27a4f4, v38
	s_delay_alu instid0(VALU_DEP_3) | instskip(SKIP_3) | instid1(VALU_DEP_4)
	v_fmamk_f32 v46, v1, 0x3e903f40, v41
	v_fmac_f32_e32 v41, 0xbe903f40, v1
	v_mul_f32_e32 v43, 0x3ed4b147, v40
	v_mul_f32_e32 v44, 0xbe11bafb, v38
	v_dual_mul_f32 v55, 0x3ed4b147, v36 :: v_dual_add_f32 v46, v7, v46
	s_delay_alu instid0(VALU_DEP_4) | instskip(SKIP_2) | instid1(VALU_DEP_2)
	v_dual_add_f32 v41, v7, v41 :: v_dual_fmamk_f32 v50, v4, 0xbf0a6770, v45
	v_fmac_f32_e32 v45, 0x3f0a6770, v4
	v_dual_add_f32 v59, v7, v13 :: v_dual_add_f32 v18, v18, v43
	v_add_f32_e32 v41, v45, v41
	s_delay_alu instid0(VALU_DEP_4) | instskip(SKIP_3) | instid1(VALU_DEP_3)
	v_dual_mul_f32 v47, 0xbf27a4f4, v37 :: v_dual_add_f32 v46, v50, v46
	v_mul_f32_e32 v50, 0xbf27a4f4, v39
	v_mul_f32_e32 v57, 0x3ed4b147, v38
	v_add_f32_e32 v59, v59, v11
	v_fmamk_f32 v45, v1, 0x3f4178ce, v50
	v_fmac_f32_e32 v50, 0xbf4178ce, v1
	v_fmamk_f32 v53, v6, 0x3f4178ce, v49
	v_fmac_f32_e32 v49, 0xbf4178ce, v6
	s_delay_alu instid0(VALU_DEP_4) | instskip(NEXT) | instid1(VALU_DEP_4)
	v_dual_mul_f32 v52, 0xbe11bafb, v36 :: v_dual_add_f32 v45, v7, v45
	v_dual_add_f32 v50, v7, v50 :: v_dual_mul_f32 v51, 0x3ed4b147, v37
	s_delay_alu instid0(VALU_DEP_4) | instskip(NEXT) | instid1(VALU_DEP_2)
	v_add_f32_e32 v46, v53, v46
	v_dual_add_f32 v41, v49, v41 :: v_dual_fmamk_f32 v54, v15, 0xbf68dda4, v51
	s_delay_alu instid0(VALU_DEP_1) | instskip(NEXT) | instid1(VALU_DEP_1)
	v_dual_fmac_f32 v51, 0x3f68dda4, v15 :: v_dual_add_f32 v46, v54, v46
	v_dual_mul_f32 v54, 0xbe11bafb, v40 :: v_dual_add_f32 v41, v51, v41
	v_mul_f32_e32 v51, 0xbf75a155, v37
	s_delay_alu instid0(VALU_DEP_2) | instskip(SKIP_2) | instid1(VALU_DEP_2)
	v_fmamk_f32 v49, v4, 0xbf7d64f0, v54
	v_fmac_f32_e32 v54, 0x3f7d64f0, v4
	v_fmamk_f32 v53, v16, 0x3f7d64f0, v52
	v_dual_add_f32 v45, v49, v45 :: v_dual_add_f32 v50, v54, v50
	s_delay_alu instid0(VALU_DEP_2) | instskip(SKIP_2) | instid1(VALU_DEP_2)
	v_add_f32_e32 v46, v53, v46
	v_mul_f32_e32 v53, 0x3f575c64, v38
	v_mul_f32_e32 v54, 0xbf75a155, v40
	v_fmamk_f32 v49, v6, 0x3f0a6770, v53
	v_fmac_f32_e32 v52, 0xbf7d64f0, v16
	v_fmac_f32_e32 v53, 0xbf0a6770, v6
	s_delay_alu instid0(VALU_DEP_3) | instskip(NEXT) | instid1(VALU_DEP_3)
	v_add_f32_e32 v45, v49, v45
	v_dual_add_f32 v41, v52, v41 :: v_dual_mul_f32 v52, 0xbe11bafb, v39
	v_fmamk_f32 v49, v15, 0x3e903f40, v51
	s_delay_alu instid0(VALU_DEP_4) | instskip(SKIP_1) | instid1(VALU_DEP_3)
	v_dual_mul_f32 v39, 0x3ed4b147, v39 :: v_dual_add_f32 v50, v53, v50
	v_fmamk_f32 v53, v4, 0xbe903f40, v54
	v_dual_fmac_f32 v54, 0x3e903f40, v4 :: v_dual_add_f32 v45, v49, v45
	v_fmamk_f32 v49, v1, 0x3f7d64f0, v52
	v_fmac_f32_e32 v52, 0xbf7d64f0, v1
	v_fmamk_f32 v58, v1, 0x3f68dda4, v39
	v_fmac_f32_e32 v39, 0xbf68dda4, v1
	v_mul_f32_e32 v1, 0xbe11bafb, v37
	v_dual_add_f32 v17, v17, v42 :: v_dual_fmamk_f32 v56, v16, 0xbf68dda4, v55
	v_add_f32_e32 v49, v7, v49
	v_add_f32_e32 v52, v7, v52
	s_delay_alu instid0(VALU_DEP_1) | instskip(NEXT) | instid1(VALU_DEP_1)
	v_dual_add_f32 v17, v7, v17 :: v_dual_add_f32 v52, v54, v52
	v_add_f32_e32 v17, v18, v17
	s_delay_alu instid0(VALU_DEP_4) | instskip(SKIP_2) | instid1(VALU_DEP_3)
	v_dual_add_f32 v18, v34, v44 :: v_dual_add_f32 v49, v53, v49
	v_dual_mul_f32 v53, 0x3f575c64, v37 :: v_dual_mul_f32 v34, 0x3f575c64, v36
	v_add_f32_e32 v45, v56, v45
	v_dual_add_f32 v17, v18, v17 :: v_dual_add_f32 v18, v19, v47
	s_delay_alu instid0(VALU_DEP_3) | instskip(SKIP_4) | instid1(VALU_DEP_3)
	v_fmamk_f32 v56, v15, 0x3f0a6770, v53
	v_mul_f32_e32 v38, 0xbf75a155, v38
	v_fmac_f32_e32 v51, 0xbe903f40, v15
	v_fmac_f32_e32 v53, 0xbf0a6770, v15
	v_dual_add_f32 v17, v18, v17 :: v_dual_add_f32 v18, v35, v48
	v_dual_add_f32 v50, v51, v50 :: v_dual_fmamk_f32 v51, v6, 0xbf68dda4, v57
	v_fmac_f32_e32 v57, 0x3f68dda4, v6
	s_delay_alu instid0(VALU_DEP_1) | instskip(SKIP_1) | instid1(VALU_DEP_2)
	v_dual_add_f32 v52, v57, v52 :: v_dual_add_f32 v57, v7, v58
	v_dual_mul_f32 v40, 0xbf27a4f4, v40 :: v_dual_add_f32 v7, v7, v39
	v_add_f32_e32 v52, v53, v52
	s_delay_alu instid0(VALU_DEP_2) | instskip(NEXT) | instid1(VALU_DEP_1)
	v_fmamk_f32 v58, v4, 0x3f4178ce, v40
	v_add_f32_e32 v53, v58, v57
	v_dual_add_f32 v57, v59, v9 :: v_dual_fmamk_f32 v58, v6, 0xbe903f40, v38
	v_fmac_f32_e32 v40, 0xbf4178ce, v4
	v_fmac_f32_e32 v38, 0x3e903f40, v6
	v_fmamk_f32 v4, v15, 0xbf7d64f0, v1
	s_delay_alu instid0(VALU_DEP_4) | instskip(NEXT) | instid1(VALU_DEP_4)
	v_dual_add_f32 v42, v57, v32 :: v_dual_fmac_f32 v1, 0x3f7d64f0, v15
	v_add_f32_e32 v7, v40, v7
	v_fmamk_f32 v15, v16, 0xbf0a6770, v34
	s_delay_alu instid0(VALU_DEP_3) | instskip(NEXT) | instid1(VALU_DEP_3)
	v_dual_fmac_f32 v34, 0x3f0a6770, v16 :: v_dual_add_f32 v37, v42, v30
	v_add_f32_e32 v7, v38, v7
	s_delay_alu instid0(VALU_DEP_2) | instskip(NEXT) | instid1(VALU_DEP_2)
	v_add_f32_e32 v37, v37, v28
	v_add_f32_e32 v1, v1, v7
	s_delay_alu instid0(VALU_DEP_2) | instskip(SKIP_1) | instid1(VALU_DEP_3)
	v_dual_add_f32 v7, v18, v17 :: v_dual_add_f32 v6, v37, v26
	v_add_f32_e32 v49, v51, v49
	v_add_f32_e32 v1, v34, v1
	s_delay_alu instid0(VALU_DEP_2) | instskip(SKIP_1) | instid1(VALU_DEP_2)
	v_dual_add_f32 v6, v6, v24 :: v_dual_add_f32 v49, v56, v49
	v_mul_f32_e32 v51, 0xbf27a4f4, v36
	v_add_f32_e32 v6, v6, v20
	s_delay_alu instid0(VALU_DEP_2) | instskip(NEXT) | instid1(VALU_DEP_2)
	v_fmamk_f32 v54, v16, 0x3f4178ce, v51
	v_add_f32_e32 v6, v6, v22
	s_delay_alu instid0(VALU_DEP_2) | instskip(NEXT) | instid1(VALU_DEP_1)
	v_dual_add_f32 v18, v54, v49 :: v_dual_fmac_f32 v51, 0xbf4178ce, v16
	v_dual_add_f32 v51, v51, v52 :: v_dual_add_f32 v52, v58, v53
	v_fmac_f32_e32 v55, 0x3f68dda4, v16
	v_mad_u32_u24 v16, v0, 44, 0
	s_delay_alu instid0(VALU_DEP_2) | instskip(NEXT) | instid1(VALU_DEP_1)
	v_dual_add_f32 v4, v4, v52 :: v_dual_add_f32 v17, v55, v50
	v_add_f32_e32 v4, v15, v4
	ds_store_2addr_b32 v16, v6, v7 offset1:1
	ds_store_2addr_b32 v16, v1, v51 offset0:2 offset1:3
	ds_store_2addr_b32 v16, v17, v41 offset0:4 offset1:5
	;; [unrolled: 1-line block ×4, first 2 shown]
	ds_store_b32 v16, v5 offset:40
.LBB0_13:
	s_wait_alu 0xfffe
	s_or_b32 exec_lo, exec_lo, s1
	v_dual_sub_f32 v44, v13, v22 :: v_dual_sub_f32 v41, v11, v20
	v_add_f32_e32 v42, v14, v23
	v_dual_add_f32 v40, v12, v21 :: v_dual_sub_f32 v39, v9, v24
	s_delay_alu instid0(VALU_DEP_3) | instskip(SKIP_2) | instid1(VALU_DEP_3)
	v_dual_mul_f32 v43, 0xbf0a6770, v44 :: v_dual_add_f32 v38, v10, v25
	v_dual_add_f32 v13, v33, v27 :: v_dual_sub_f32 v24, v32, v26
	v_dual_mul_f32 v32, 0xbf68dda4, v41 :: v_dual_sub_f32 v9, v30, v28
	v_fmamk_f32 v1, v42, 0x3f575c64, v43
	v_mul_f32_e32 v30, 0xbf7d64f0, v39
	v_lshl_add_u32 v50, v0, 2, 0
	global_wb scope:SCOPE_SE
	s_wait_dscnt 0x0
	v_mul_f32_e32 v26, 0xbe903f40, v9
	v_add_f32_e32 v1, v8, v1
	v_fmamk_f32 v7, v38, 0xbe11bafb, v30
	v_fmamk_f32 v4, v40, 0x3ed4b147, v32
	v_add_nc_u32_e32 v6, 0x400, v50
	v_add_nc_u32_e32 v11, 0x1200, v50
	s_barrier_signal -1
	s_barrier_wait -1
	v_dual_add_f32 v22, v4, v1 :: v_dual_add_nc_u32 v1, 0x900, v50
	global_inv scope:SCOPE_SE
	v_add_f32_e32 v7, v7, v22
	v_add_f32_e32 v22, v31, v29
	v_mul_f32_e32 v28, 0xbf4178ce, v24
	s_delay_alu instid0(VALU_DEP_1) | instskip(NEXT) | instid1(VALU_DEP_1)
	v_fmamk_f32 v45, v13, 0xbf27a4f4, v28
	v_add_f32_e32 v7, v45, v7
	s_delay_alu instid0(VALU_DEP_4) | instskip(NEXT) | instid1(VALU_DEP_1)
	v_fmamk_f32 v45, v22, 0xbf75a155, v26
	v_dual_add_f32 v7, v45, v7 :: v_dual_add_nc_u32 v4, 0xe00, v50
	ds_load_2addr_b32 v[34:35], v50 offset1:154
	ds_load_2addr_b32 v[19:20], v1 offset0:40 offset1:194
	ds_load_2addr_b32 v[17:18], v4 offset0:28 offset1:182
	;; [unrolled: 1-line block ×4, first 2 shown]
	global_wb scope:SCOPE_SE
	s_wait_dscnt 0x0
	s_barrier_signal -1
	s_barrier_wait -1
	global_inv scope:SCOPE_SE
	s_and_saveexec_b32 s1, s0
	s_cbranch_execz .LBB0_15
; %bb.14:
	v_dual_add_f32 v14, v8, v14 :: v_dual_mul_f32 v49, 0xbf68dda4, v44
	s_delay_alu instid0(VALU_DEP_1) | instskip(SKIP_2) | instid1(VALU_DEP_3)
	v_dual_mul_f32 v45, 0x3f575c64, v42 :: v_dual_add_f32 v12, v14, v12
	v_mul_f32_e32 v51, 0xbf7d64f0, v44
	v_mul_f32_e32 v46, 0x3ed4b147, v40
	v_add_f32_e32 v10, v12, v10
	s_delay_alu instid0(VALU_DEP_1)
	v_dual_mul_f32 v47, 0xbe11bafb, v38 :: v_dual_add_f32 v10, v10, v33
	v_mul_f32_e32 v53, 0x3e903f40, v41
	v_sub_f32_e32 v33, v45, v43
	v_fma_f32 v43, 0x3ed4b147, v42, -v49
	v_fma_f32 v45, 0xbe11bafb, v42, -v51
	v_dual_add_f32 v10, v10, v31 :: v_dual_fmac_f32 v49, 0x3ed4b147, v42
	v_mul_f32_e32 v12, 0xbe903f40, v44
	v_mul_f32_e32 v48, 0xbf27a4f4, v13
	v_dual_mul_f32 v14, 0xbf75a155, v22 :: v_dual_add_f32 v33, v8, v33
	s_delay_alu instid0(VALU_DEP_4)
	v_add_f32_e32 v10, v10, v29
	v_mul_f32_e32 v52, 0xbf4178ce, v44
	v_fmac_f32_e32 v51, 0xbe11bafb, v42
	v_sub_f32_e32 v29, v46, v32
	v_sub_f32_e32 v28, v48, v28
	v_add_f32_e32 v10, v10, v27
	v_mul_f32_e32 v44, 0xbf4178ce, v41
	v_fma_f32 v31, 0xbf27a4f4, v42, -v52
	v_mul_f32_e32 v54, 0x3f7d64f0, v41
	v_fma_f32 v27, 0xbf75a155, v40, -v53
	v_add_f32_e32 v10, v10, v25
	v_add_f32_e32 v25, v8, v45
	v_fma_f32 v55, 0xbf75a155, v42, -v12
	v_fmac_f32_e32 v52, 0xbf27a4f4, v42
	v_dual_fmac_f32 v12, 0xbf75a155, v42 :: v_dual_fmac_f32 v53, 0xbf75a155, v40
	v_add_f32_e32 v42, v8, v43
	v_add_f32_e32 v45, v8, v51
	v_fma_f32 v32, 0xbf27a4f4, v40, -v44
	v_add_f32_e32 v43, v8, v49
	v_dual_add_f32 v31, v8, v31 :: v_dual_add_f32 v10, v10, v21
	v_add_f32_e32 v21, v8, v55
	v_dual_add_f32 v46, v8, v52 :: v_dual_add_f32 v25, v27, v25
	v_dual_add_f32 v8, v8, v12 :: v_dual_add_f32 v27, v53, v45
	v_add_f32_e32 v12, v29, v33
	v_mul_f32_e32 v33, 0x3f0a6770, v41
	v_mul_f32_e32 v41, 0x3e903f40, v39
	v_dual_fmac_f32 v44, 0xbf27a4f4, v40 :: v_dual_add_f32 v29, v32, v42
	v_fma_f32 v32, 0xbe11bafb, v40, -v54
	s_delay_alu instid0(VALU_DEP_1) | instskip(SKIP_4) | instid1(VALU_DEP_3)
	v_dual_sub_f32 v14, v14, v26 :: v_dual_add_f32 v31, v32, v31
	v_add_f32_e32 v10, v10, v23
	v_fma_f32 v32, 0x3f575c64, v40, -v33
	v_fmac_f32_e32 v33, 0x3f575c64, v40
	v_dual_fmac_f32 v54, 0xbe11bafb, v40 :: v_dual_add_f32 v23, v44, v43
	v_add_f32_e32 v21, v32, v21
	v_fma_f32 v32, 0xbf75a155, v38, -v41
	s_delay_alu instid0(VALU_DEP_3) | instskip(SKIP_3) | instid1(VALU_DEP_3)
	v_add_f32_e32 v40, v54, v46
	v_sub_f32_e32 v30, v47, v30
	v_dual_add_f32 v8, v33, v8 :: v_dual_fmac_f32 v41, 0xbf75a155, v38
	v_mul_f32_e32 v33, 0x3f68dda4, v39
	v_dual_add_f32 v29, v32, v29 :: v_dual_add_f32 v12, v30, v12
	s_delay_alu instid0(VALU_DEP_2) | instskip(SKIP_2) | instid1(VALU_DEP_4)
	v_fma_f32 v32, 0x3ed4b147, v38, -v33
	v_fmac_f32_e32 v33, 0x3ed4b147, v38
	v_mul_f32_e32 v30, 0xbf0a6770, v39
	v_add_f32_e32 v12, v28, v12
	s_delay_alu instid0(VALU_DEP_4) | instskip(SKIP_1) | instid1(VALU_DEP_4)
	v_add_f32_e32 v25, v32, v25
	v_add_f32_e32 v23, v41, v23
	v_fma_f32 v41, 0x3f575c64, v38, -v30
	v_fmac_f32_e32 v30, 0x3f575c64, v38
	v_mul_f32_e32 v39, 0xbf4178ce, v39
	v_add_f32_e32 v27, v33, v27
	v_mul_f32_e32 v33, 0x3f7d64f0, v24
	v_add_f32_e32 v12, v14, v12
	v_add_f32_e32 v30, v30, v40
	v_fma_f32 v32, 0xbf27a4f4, v38, -v39
	v_fmac_f32_e32 v39, 0xbf27a4f4, v38
	v_dual_mul_f32 v38, 0xbf0a6770, v24 :: v_dual_add_f32 v31, v41, v31
	s_delay_alu instid0(VALU_DEP_3) | instskip(SKIP_1) | instid1(VALU_DEP_4)
	v_add_f32_e32 v21, v32, v21
	v_fma_f32 v32, 0xbe11bafb, v13, -v33
	v_add_f32_e32 v8, v39, v8
	s_delay_alu instid0(VALU_DEP_2) | instskip(SKIP_2) | instid1(VALU_DEP_2)
	v_add_f32_e32 v28, v32, v29
	v_fmac_f32_e32 v33, 0xbe11bafb, v13
	v_fma_f32 v32, 0x3f575c64, v13, -v38
	v_dual_fmac_f32 v38, 0x3f575c64, v13 :: v_dual_add_f32 v23, v33, v23
	v_mul_f32_e32 v26, 0xbf4178ce, v9
	s_delay_alu instid0(VALU_DEP_3) | instskip(NEXT) | instid1(VALU_DEP_3)
	v_add_f32_e32 v25, v32, v25
	v_add_f32_e32 v27, v38, v27
	s_delay_alu instid0(VALU_DEP_3) | instskip(SKIP_2) | instid1(VALU_DEP_3)
	v_fma_f32 v14, 0xbf27a4f4, v22, -v26
	v_mul_f32_e32 v29, 0xbe903f40, v24
	v_mul_f32_e32 v24, 0x3f68dda4, v24
	v_add_f32_e32 v14, v14, v25
	s_delay_alu instid0(VALU_DEP_3) | instskip(NEXT) | instid1(VALU_DEP_3)
	v_fma_f32 v33, 0xbf75a155, v13, -v29
	v_fma_f32 v32, 0x3ed4b147, v13, -v24
	v_fmac_f32_e32 v24, 0x3ed4b147, v13
	v_fmac_f32_e32 v29, 0xbf75a155, v13
	v_mul_f32_e32 v13, 0x3f0a6770, v9
	s_delay_alu instid0(VALU_DEP_3) | instskip(NEXT) | instid1(VALU_DEP_3)
	v_dual_add_f32 v31, v33, v31 :: v_dual_add_f32 v8, v24, v8
	v_dual_add_f32 v29, v29, v30 :: v_dual_mul_f32 v30, 0x3f68dda4, v9
	s_delay_alu instid0(VALU_DEP_3) | instskip(NEXT) | instid1(VALU_DEP_1)
	v_fma_f32 v24, 0x3f575c64, v22, -v13
	v_dual_mul_f32 v9, 0xbf7d64f0, v9 :: v_dual_add_f32 v24, v24, v28
	v_fmac_f32_e32 v13, 0x3f575c64, v22
	s_delay_alu instid0(VALU_DEP_2) | instskip(NEXT) | instid1(VALU_DEP_2)
	v_fma_f32 v25, 0xbe11bafb, v22, -v9
	v_add_f32_e32 v13, v13, v23
	v_dual_add_f32 v21, v32, v21 :: v_dual_fmac_f32 v26, 0xbf27a4f4, v22
	v_fma_f32 v23, 0x3ed4b147, v22, -v30
	s_delay_alu instid0(VALU_DEP_2) | instskip(NEXT) | instid1(VALU_DEP_2)
	v_dual_fmac_f32 v30, 0x3ed4b147, v22 :: v_dual_add_f32 v21, v25, v21
	v_dual_fmac_f32 v9, 0xbe11bafb, v22 :: v_dual_add_f32 v22, v23, v31
	s_delay_alu instid0(VALU_DEP_2) | instskip(SKIP_1) | instid1(VALU_DEP_3)
	v_add_f32_e32 v28, v30, v29
	v_mad_u32_u24 v23, v0, 40, v50
	v_dual_add_f32 v8, v9, v8 :: v_dual_add_f32 v9, v26, v27
	ds_store_2addr_b32 v23, v10, v12 offset1:1
	ds_store_2addr_b32 v23, v24, v14 offset0:2 offset1:3
	ds_store_2addr_b32 v23, v22, v21 offset0:4 offset1:5
	;; [unrolled: 1-line block ×4, first 2 shown]
	ds_store_b32 v23, v7 offset:40
.LBB0_15:
	s_wait_alu 0xfffe
	s_or_b32 exec_lo, exec_lo, s1
	v_and_b32_e32 v8, 0xff, v0
	v_add_nc_u32_e32 v53, 0x9a, v0
	v_add_nc_u32_e32 v33, 0x134, v0
	;; [unrolled: 1-line block ×4, first 2 shown]
	v_mul_lo_u16 v8, 0x75, v8
	v_and_b32_e32 v10, 0xffff, v53
	v_and_b32_e32 v12, 0xffff, v33
	v_and_b32_e32 v13, 0xffff, v51
	v_and_b32_e32 v14, 0xffff, v52
	v_lshrrev_b16 v8, 8, v8
	v_mul_u32_u24_e32 v54, 0xba2f, v10
	global_wb scope:SCOPE_SE
	s_wait_dscnt 0x0
	v_mul_u32_u24_e32 v10, 0xba2f, v13
	s_barrier_signal -1
	v_sub_nc_u16 v9, v0, v8
	v_lshrrev_b32_e32 v22, 19, v54
	s_barrier_wait -1
	v_lshrrev_b32_e32 v10, 19, v10
	global_inv scope:SCOPE_SE
	v_lshrrev_b16 v9, 1, v9
	v_add_nc_u32_e32 v55, 0xd80, v50
	v_cmp_gt_u32_e64 s0, 0x42, v0
	v_mul_lo_u16 v13, v10, 11
	s_delay_alu instid0(VALU_DEP_4) | instskip(NEXT) | instid1(VALU_DEP_2)
	v_and_b32_e32 v9, 0x7f, v9
	v_sub_nc_u16 v13, v51, v13
	s_delay_alu instid0(VALU_DEP_2) | instskip(SKIP_2) | instid1(VALU_DEP_4)
	v_add_nc_u16 v8, v9, v8
	v_mul_u32_u24_e32 v9, 0xba2f, v12
	v_mul_u32_u24_e32 v12, 0xba2f, v14
	v_and_b32_e32 v28, 0xffff, v13
	s_delay_alu instid0(VALU_DEP_4) | instskip(NEXT) | instid1(VALU_DEP_4)
	v_lshrrev_b16 v21, 3, v8
	v_lshrrev_b32_e32 v23, 19, v9
	s_delay_alu instid0(VALU_DEP_4) | instskip(SKIP_1) | instid1(VALU_DEP_4)
	v_lshrrev_b32_e32 v24, 19, v12
	v_mul_lo_u16 v9, v22, 11
	v_mul_lo_u16 v8, v21, 11
	s_delay_alu instid0(VALU_DEP_4) | instskip(NEXT) | instid1(VALU_DEP_4)
	v_mul_lo_u16 v12, v23, 11
	v_mul_lo_u16 v14, v24, 11
	s_delay_alu instid0(VALU_DEP_4)
	v_sub_nc_u16 v9, v53, v9
	v_and_b32_e32 v21, 0xffff, v21
	v_sub_nc_u16 v8, v0, v8
	v_sub_nc_u16 v12, v33, v12
	;; [unrolled: 1-line block ×3, first 2 shown]
	v_and_b32_e32 v26, 0xffff, v9
	s_delay_alu instid0(VALU_DEP_4) | instskip(NEXT) | instid1(VALU_DEP_4)
	v_and_b32_e32 v25, 0xff, v8
	v_and_b32_e32 v27, 0xffff, v12
	s_delay_alu instid0(VALU_DEP_4) | instskip(NEXT) | instid1(VALU_DEP_4)
	v_and_b32_e32 v56, 0xffff, v14
	v_lshlrev_b32_e32 v12, 3, v26
	v_lshlrev_b32_e32 v14, 3, v28
	;; [unrolled: 1-line block ×5, first 2 shown]
	s_clause 0x4
	global_load_b64 v[8:9], v8, s[4:5]
	global_load_b64 v[38:39], v12, s[4:5]
	;; [unrolled: 1-line block ×5, first 2 shown]
	ds_load_2addr_b32 v[29:30], v50 offset1:154
	ds_load_2addr_b32 v[12:13], v1 offset0:40 offset1:194
	ds_load_2addr_b32 v[46:47], v4 offset0:28 offset1:182
	;; [unrolled: 1-line block ×4, first 2 shown]
	v_mul_u32_u24_e32 v4, 0x58, v23
	v_mul_u32_u24_e32 v6, 0x58, v10
	v_lshlrev_b32_e32 v23, 2, v28
	v_mul_u32_u24_e32 v10, 0x58, v24
	v_lshlrev_b32_e32 v24, 2, v56
	;; [unrolled: 2-line block ×3, first 2 shown]
	v_add3_u32 v58, 0, v6, v23
	v_add_nc_u32_e32 v14, 0x680, v50
	v_add3_u32 v59, 0, v10, v24
	global_wb scope:SCOPE_SE
	s_wait_loadcnt_dscnt 0x0
	v_add3_u32 v56, 0, v1, v11
	v_mul_u32_u24_e32 v1, 0x58, v21
	s_barrier_signal -1
	s_barrier_wait -1
	global_inv scope:SCOPE_SE
	v_mul_f32_e32 v6, v47, v41
	v_dual_mul_f32 v10, v48, v43 :: v_dual_mul_f32 v11, v49, v45
	s_delay_alu instid0(VALU_DEP_2) | instskip(NEXT) | instid1(VALU_DEP_2)
	v_fmac_f32_e32 v6, v18, v40
	v_dual_fmac_f32 v10, v15, v42 :: v_dual_fmac_f32 v11, v16, v44
	s_delay_alu instid0(VALU_DEP_2) | instskip(SKIP_1) | instid1(VALU_DEP_3)
	v_sub_f32_e32 v6, v36, v6
	v_lshlrev_b32_e32 v22, 2, v27
	v_sub_f32_e32 v10, v37, v10
                                        ; implicit-def: $vgpr27
	s_delay_alu instid0(VALU_DEP_3) | instskip(NEXT) | instid1(VALU_DEP_3)
	v_fma_f32 v24, v36, 2.0, -v6
	v_add3_u32 v57, 0, v4, v22
	v_lshlrev_b32_e32 v4, 2, v25
	s_delay_alu instid0(VALU_DEP_4) | instskip(NEXT) | instid1(VALU_DEP_2)
	v_fma_f32 v25, v37, 2.0, -v10
	v_add3_u32 v60, 0, v1, v4
	v_dual_mul_f32 v1, v13, v9 :: v_dual_mul_f32 v4, v46, v39
	s_delay_alu instid0(VALU_DEP_1) | instskip(NEXT) | instid1(VALU_DEP_1)
	v_dual_fmac_f32 v1, v20, v8 :: v_dual_fmac_f32 v4, v17, v38
	v_sub_f32_e32 v1, v34, v1
	s_delay_alu instid0(VALU_DEP_2) | instskip(SKIP_1) | instid1(VALU_DEP_3)
	v_sub_f32_e32 v21, v35, v4
	v_sub_f32_e32 v4, v19, v11
	v_fma_f32 v22, v34, 2.0, -v1
	s_delay_alu instid0(VALU_DEP_3) | instskip(NEXT) | instid1(VALU_DEP_3)
	v_fma_f32 v23, v35, 2.0, -v21
	v_fma_f32 v11, v19, 2.0, -v4
	ds_store_2addr_b32 v60, v22, v1 offset1:11
	ds_store_2addr_b32 v56, v23, v21 offset1:11
	;; [unrolled: 1-line block ×5, first 2 shown]
	global_wb scope:SCOPE_SE
	s_wait_dscnt 0x0
	s_barrier_signal -1
	s_barrier_wait -1
	global_inv scope:SCOPE_SE
	ds_load_2addr_b32 v[21:22], v50 offset1:220
	ds_load_2addr_b32 v[25:26], v14 offset0:24 offset1:244
	ds_load_2addr_b32 v[23:24], v55 offset0:16 offset1:236
	ds_load_b32 v1, v50 offset:5280
                                        ; implicit-def: $vgpr34
	s_and_saveexec_b32 s1, s0
	s_cbranch_execz .LBB0_17
; %bb.16:
	v_add_nc_u32_e32 v4, 0x200, v50
	v_add_nc_u32_e32 v5, 0x900, v50
	;; [unrolled: 1-line block ×3, first 2 shown]
	ds_load_2addr_b32 v[10:11], v4 offset0:26 offset1:246
	ds_load_2addr_b32 v[4:5], v5 offset0:18 offset1:238
	;; [unrolled: 1-line block ×3, first 2 shown]
	ds_load_b32 v34, v50 offset:5896
.LBB0_17:
	s_wait_alu 0xfffe
	s_or_b32 exec_lo, exec_lo, s1
	v_dual_mul_f32 v6, v20, v9 :: v_dual_mul_f32 v9, v17, v39
	v_dual_mul_f32 v15, v15, v43 :: v_dual_mul_f32 v16, v16, v45
	global_wb scope:SCOPE_SE
	s_wait_dscnt 0x0
	v_fma_f32 v6, v13, v8, -v6
	v_mul_f32_e32 v17, v18, v41
	v_fma_f32 v8, v46, v38, -v9
	v_fma_f32 v13, v48, v42, -v15
	;; [unrolled: 1-line block ×3, first 2 shown]
	v_sub_f32_e32 v16, v29, v6
	v_fma_f32 v9, v47, v40, -v17
	s_delay_alu instid0(VALU_DEP_4) | instskip(NEXT) | instid1(VALU_DEP_4)
	v_dual_sub_f32 v17, v30, v8 :: v_dual_sub_f32 v8, v32, v13
	v_sub_f32_e32 v6, v12, v15
	s_delay_alu instid0(VALU_DEP_4) | instskip(NEXT) | instid1(VALU_DEP_4)
	v_fma_f32 v13, v29, 2.0, -v16
	v_sub_f32_e32 v18, v31, v9
	s_delay_alu instid0(VALU_DEP_4)
	v_fma_f32 v15, v30, 2.0, -v17
	v_fma_f32 v20, v32, 2.0, -v8
	;; [unrolled: 1-line block ×3, first 2 shown]
	s_barrier_signal -1
	v_fma_f32 v19, v31, 2.0, -v18
	s_barrier_wait -1
	global_inv scope:SCOPE_SE
	ds_store_2addr_b32 v60, v13, v16 offset1:11
	ds_store_2addr_b32 v56, v15, v17 offset1:11
	;; [unrolled: 1-line block ×5, first 2 shown]
	global_wb scope:SCOPE_SE
	s_wait_dscnt 0x0
	s_barrier_signal -1
	s_barrier_wait -1
	global_inv scope:SCOPE_SE
	ds_load_2addr_b32 v[12:13], v50 offset1:220
	ds_load_2addr_b32 v[16:17], v14 offset0:24 offset1:244
	ds_load_2addr_b32 v[14:15], v55 offset0:16 offset1:236
	ds_load_b32 v39, v50 offset:5280
                                        ; implicit-def: $vgpr18
                                        ; implicit-def: $vgpr37
	s_and_saveexec_b32 s1, s0
	s_cbranch_execz .LBB0_19
; %bb.18:
	v_add_nc_u32_e32 v6, 0x200, v50
	v_add_nc_u32_e32 v7, 0x900, v50
	;; [unrolled: 1-line block ×3, first 2 shown]
	ds_load_2addr_b32 v[8:9], v6 offset0:26 offset1:246
	ds_load_2addr_b32 v[6:7], v7 offset0:18 offset1:238
	;; [unrolled: 1-line block ×3, first 2 shown]
	ds_load_b32 v37, v50 offset:5896
.LBB0_19:
	s_wait_alu 0xfffe
	s_or_b32 exec_lo, exec_lo, s1
	v_lshrrev_b32_e32 v20, 20, v54
	v_lshrrev_b16 v29, 1, v0
	s_delay_alu instid0(VALU_DEP_2) | instskip(NEXT) | instid1(VALU_DEP_1)
	v_mul_lo_u16 v20, v20, 22
	v_sub_nc_u16 v20, v53, v20
	s_delay_alu instid0(VALU_DEP_1) | instskip(NEXT) | instid1(VALU_DEP_1)
	v_and_b32_e32 v20, 0xffff, v20
	v_mul_u32_u24_e32 v30, 6, v20
	s_delay_alu instid0(VALU_DEP_1)
	v_lshlrev_b32_e32 v30, 3, v30
	s_clause 0x1
	global_load_b128 v[40:43], v30, s[4:5] offset:104
	global_load_b128 v[44:47], v30, s[4:5] offset:120
	v_and_b32_e32 v29, 0x7f, v29
	s_wait_loadcnt 0x1
	v_mul_f32_e32 v38, v5, v41
	s_wait_loadcnt_dscnt 0x0
	v_mul_f32_e32 v36, v37, v47
	v_mul_lo_u16 v29, 0xbb, v29
	s_delay_alu instid0(VALU_DEP_1) | instskip(NEXT) | instid1(VALU_DEP_1)
	v_lshrrev_b16 v29, 11, v29
	v_mul_lo_u16 v31, v29, 22
	v_and_b32_e32 v29, 0xffff, v29
	s_delay_alu instid0(VALU_DEP_2) | instskip(NEXT) | instid1(VALU_DEP_1)
	v_sub_nc_u16 v31, v0, v31
	v_and_b32_e32 v31, 0xff, v31
	s_delay_alu instid0(VALU_DEP_1) | instskip(SKIP_1) | instid1(VALU_DEP_2)
	v_mul_u32_u24_e32 v32, 6, v31
	v_lshlrev_b32_e32 v31, 2, v31
	v_lshlrev_b32_e32 v32, 3, v32
	s_clause 0x3
	global_load_b128 v[54:57], v32, s[4:5] offset:88
	global_load_b128 v[58:61], v32, s[4:5] offset:104
	;; [unrolled: 1-line block ×4, first 2 shown]
	v_mul_u32_u24_e32 v30, 0x268, v29
	v_mul_f32_e32 v32, v19, v45
	v_fmac_f32_e32 v36, v34, v46
	v_lshrrev_b16 v29, 1, v53
	global_wb scope:SCOPE_SE
	s_wait_loadcnt 0x0
	v_add3_u32 v35, 0, v30, v31
	v_dual_mul_f32 v30, v7, v41 :: v_dual_mul_f32 v31, v18, v43
	v_dual_mul_f32 v41, v27, v43 :: v_dual_lshlrev_b32 v20, 2, v20
	v_mul_f32_e32 v43, v28, v45
	s_delay_alu instid0(VALU_DEP_3) | instskip(NEXT) | instid1(VALU_DEP_4)
	v_dual_mul_f32 v45, v34, v47 :: v_dual_fmac_f32 v30, v5, v40
	v_dual_fmac_f32 v31, v27, v42 :: v_dual_fmac_f32 v32, v28, v44
	s_delay_alu instid0(VALU_DEP_4)
	v_fma_f32 v27, v18, v42, -v41
	v_fma_f32 v7, v7, v40, -v38
	;; [unrolled: 1-line block ×4, first 2 shown]
	s_barrier_signal -1
	s_barrier_wait -1
	global_inv scope:SCOPE_SE
	v_dual_mul_f32 v18, v13, v55 :: v_dual_mul_f32 v5, v16, v57
	v_dual_mul_f32 v41, v15, v63 :: v_dual_mul_f32 v48, v1, v65
	;; [unrolled: 1-line block ×3, first 2 shown]
	s_delay_alu instid0(VALU_DEP_3)
	v_fmac_f32_e32 v5, v25, v56
	v_dual_mul_f32 v44, v25, v57 :: v_dual_mul_f32 v45, v26, v59
	v_dual_mul_f32 v19, v17, v59 :: v_dual_mul_f32 v40, v14, v61
	;; [unrolled: 1-line block ×4, first 2 shown]
	v_mul_f32_e32 v37, v6, v69
	v_dual_mul_f32 v49, v11, v67 :: v_dual_fmac_f32 v18, v22, v54
	v_dual_fmac_f32 v42, v1, v64 :: v_dual_fmac_f32 v41, v24, v62
	v_fma_f32 v22, v13, v54, -v43
	v_dual_fmac_f32 v19, v26, v58 :: v_dual_fmac_f32 v40, v23, v60
	v_fma_f32 v13, v17, v58, -v45
	v_fma_f32 v14, v14, v60, -v46
	;; [unrolled: 1-line block ×3, first 2 shown]
	v_dual_fmac_f32 v38, v11, v66 :: v_dual_add_f32 v15, v5, v41
	v_dual_add_f32 v11, v18, v42 :: v_dual_add_f32 v24, v19, v40
	v_fma_f32 v16, v16, v56, -v44
	v_fma_f32 v17, v39, v64, -v48
	s_delay_alu instid0(VALU_DEP_3) | instskip(SKIP_2) | instid1(VALU_DEP_4)
	v_dual_sub_f32 v26, v14, v13 :: v_dual_add_f32 v39, v15, v11
	v_sub_f32_e32 v43, v15, v11
	v_sub_f32_e32 v11, v11, v24
	;; [unrolled: 1-line block ×4, first 2 shown]
	v_add_f32_e32 v24, v24, v39
	v_sub_f32_e32 v25, v16, v1
	v_fmac_f32_e32 v37, v4, v68
	v_fma_f32 v6, v6, v68, -v55
	s_delay_alu instid0(VALU_DEP_4) | instskip(NEXT) | instid1(VALU_DEP_4)
	v_add_f32_e32 v46, v21, v24
	v_add_f32_e32 v44, v26, v25
	v_dual_sub_f32 v45, v26, v25 :: v_dual_sub_f32 v26, v23, v26
	s_delay_alu instid0(VALU_DEP_3) | instskip(NEXT) | instid1(VALU_DEP_3)
	v_dual_sub_f32 v25, v25, v23 :: v_dual_fmamk_f32 v24, v24, 0xbf955555, v46
	v_add_f32_e32 v23, v44, v23
	v_mul_f32_e32 v39, 0x3d64c772, v15
	s_delay_alu instid0(VALU_DEP_4) | instskip(NEXT) | instid1(VALU_DEP_2)
	v_mul_f32_e32 v44, 0x3f08b237, v45
	v_fma_f32 v21, 0x3f3bfb3b, v43, -v39
	s_delay_alu instid0(VALU_DEP_2) | instskip(NEXT) | instid1(VALU_DEP_1)
	v_fmamk_f32 v39, v26, 0xbeae86e6, v44
	v_fmac_f32_e32 v39, 0xbee1c552, v23
	v_mul_f32_e32 v45, 0xbf5ff5aa, v25
	v_fma_f32 v25, 0xbf5ff5aa, v25, -v44
	s_delay_alu instid0(VALU_DEP_2) | instskip(NEXT) | instid1(VALU_DEP_2)
	v_fma_f32 v26, 0x3eae86e6, v26, -v45
	v_fmac_f32_e32 v25, 0xbee1c552, v23
	s_delay_alu instid0(VALU_DEP_2) | instskip(SKIP_2) | instid1(VALU_DEP_2)
	v_dual_fmac_f32 v26, 0xbee1c552, v23 :: v_dual_add_f32 v23, v21, v24
	v_mul_f32_e32 v11, 0x3f4a47b2, v11
	v_fma_f32 v21, v9, v66, -v49
	v_fmamk_f32 v15, v15, 0x3d64c772, v11
	v_fma_f32 v11, 0xbf3bfb3b, v43, -v11
	s_delay_alu instid0(VALU_DEP_2) | instskip(NEXT) | instid1(VALU_DEP_2)
	v_add_f32_e32 v15, v15, v24
	v_add_f32_e32 v11, v11, v24
	v_dual_sub_f32 v24, v23, v25 :: v_dual_add_f32 v23, v25, v23
	s_delay_alu instid0(VALU_DEP_3) | instskip(NEXT) | instid1(VALU_DEP_3)
	v_add_f32_e32 v4, v39, v15
	v_add_f32_e32 v9, v26, v11
	v_sub_f32_e32 v11, v11, v26
	v_sub_f32_e32 v15, v15, v39
	ds_store_2addr_b32 v35, v46, v4 offset1:22
	ds_store_2addr_b32 v35, v9, v24 offset0:44 offset1:66
	ds_store_2addr_b32 v35, v23, v11 offset0:88 offset1:110
	ds_store_b32 v35, v15 offset:528
	s_and_saveexec_b32 s1, s0
	s_cbranch_execz .LBB0_21
; %bb.20:
	v_dual_add_f32 v4, v38, v36 :: v_dual_sub_f32 v15, v21, v34
	v_dual_add_f32 v9, v37, v32 :: v_dual_and_b32 v26, 0x7f, v29
	v_add_f32_e32 v11, v30, v31
	s_delay_alu instid0(VALU_DEP_2) | instskip(NEXT) | instid1(VALU_DEP_3)
	v_dual_sub_f32 v23, v27, v7 :: v_dual_add_f32 v24, v9, v4
	v_mul_lo_u16 v26, 0xbb, v26
	s_delay_alu instid0(VALU_DEP_3)
	v_dual_sub_f32 v39, v4, v11 :: v_dual_sub_f32 v4, v9, v4
	v_sub_f32_e32 v25, v6, v28
	v_sub_f32_e32 v43, v11, v9
	v_add_f32_e32 v11, v11, v24
	v_sub_f32_e32 v24, v15, v23
	v_lshrrev_b16 v26, 11, v26
	v_sub_f32_e32 v44, v23, v25
	v_add_f32_e32 v23, v23, v25
	v_mul_f32_e32 v39, 0x3f4a47b2, v39
	v_sub_f32_e32 v9, v25, v15
	s_delay_alu instid0(VALU_DEP_4) | instskip(NEXT) | instid1(VALU_DEP_1)
	v_mul_f32_e32 v25, 0x3f08b237, v44
	v_fmamk_f32 v46, v24, 0xbeae86e6, v25
	v_add_f32_e32 v10, v10, v11
	v_dual_fmamk_f32 v44, v43, 0x3d64c772, v39 :: v_dual_mul_f32 v43, 0x3d64c772, v43
	v_mul_f32_e32 v45, 0xbf5ff5aa, v9
	v_fma_f32 v9, 0xbf5ff5aa, v9, -v25
	s_delay_alu instid0(VALU_DEP_4) | instskip(SKIP_1) | instid1(VALU_DEP_4)
	v_fmamk_f32 v11, v11, 0xbf955555, v10
	v_and_b32_e32 v25, 0xffff, v26
	v_fma_f32 v24, 0x3eae86e6, v24, -v45
	s_delay_alu instid0(VALU_DEP_3) | instskip(SKIP_1) | instid1(VALU_DEP_1)
	v_add_f32_e32 v44, v44, v11
	v_add_f32_e32 v15, v23, v15
	v_fmac_f32_e32 v46, 0xbee1c552, v15
	s_delay_alu instid0(VALU_DEP_1) | instskip(SKIP_2) | instid1(VALU_DEP_2)
	v_dual_fmac_f32 v9, 0xbee1c552, v15 :: v_dual_add_f32 v26, v46, v44
	v_fma_f32 v23, 0xbf3bfb3b, v4, -v39
	v_fma_f32 v4, 0x3f3bfb3b, v4, -v43
	v_add_f32_e32 v23, v23, v11
	s_delay_alu instid0(VALU_DEP_2) | instskip(SKIP_1) | instid1(VALU_DEP_2)
	v_add_f32_e32 v4, v4, v11
	v_mul_u32_u24_e32 v11, 0x268, v25
	v_dual_fmac_f32 v24, 0xbee1c552, v15 :: v_dual_sub_f32 v25, v4, v9
	s_delay_alu instid0(VALU_DEP_2) | instskip(NEXT) | instid1(VALU_DEP_2)
	v_add3_u32 v11, 0, v11, v20
	v_sub_f32_e32 v15, v23, v24
	v_dual_add_f32 v23, v24, v23 :: v_dual_add_f32 v4, v9, v4
	v_sub_f32_e32 v9, v44, v46
	ds_store_2addr_b32 v11, v10, v26 offset1:22
	ds_store_2addr_b32 v11, v23, v25 offset0:44 offset1:66
	ds_store_2addr_b32 v11, v4, v15 offset0:88 offset1:110
	ds_store_b32 v11, v9 offset:528
.LBB0_21:
	s_wait_alu 0xfffe
	s_or_b32 exec_lo, exec_lo, s1
	v_dual_add_f32 v4, v22, v17 :: v_dual_sub_f32 v11, v40, v19
	v_dual_add_f32 v1, v16, v1 :: v_dual_add_f32 v10, v13, v14
	v_sub_f32_e32 v5, v5, v41
	v_sub_f32_e32 v9, v18, v42
	s_delay_alu instid0(VALU_DEP_3) | instskip(NEXT) | instid1(VALU_DEP_4)
	v_dual_sub_f32 v14, v1, v4 :: v_dual_add_nc_u32 v17, 0x900, v50
	v_dual_add_f32 v13, v1, v4 :: v_dual_sub_f32 v4, v4, v10
	s_delay_alu instid0(VALU_DEP_4)
	v_add_f32_e32 v15, v11, v5
	v_sub_f32_e32 v1, v10, v1
	v_add_nc_u32_e32 v19, 0x1200, v50
	global_wb scope:SCOPE_SE
	s_wait_dscnt 0x0
	v_mul_f32_e32 v4, 0x3f4a47b2, v4
	v_add_f32_e32 v22, v15, v9
	v_add_f32_e32 v10, v10, v13
	v_sub_f32_e32 v13, v11, v5
	v_sub_f32_e32 v11, v9, v11
	;; [unrolled: 1-line block ×3, first 2 shown]
	v_mul_f32_e32 v9, 0x3d64c772, v1
	v_add_f32_e32 v23, v12, v10
	v_fmamk_f32 v1, v1, 0x3d64c772, v4
	v_fma_f32 v4, 0xbf3bfb3b, v14, -v4
	s_barrier_signal -1
	v_fma_f32 v9, 0x3f3bfb3b, v14, -v9
	v_fmamk_f32 v10, v10, 0xbf955555, v23
	s_barrier_wait -1
	global_inv scope:SCOPE_SE
	v_add_f32_e32 v40, v9, v10
	v_dual_mul_f32 v12, 0x3f08b237, v13 :: v_dual_add_f32 v41, v4, v10
	s_delay_alu instid0(VALU_DEP_1) | instskip(SKIP_2) | instid1(VALU_DEP_2)
	v_fmamk_f32 v24, v11, 0xbeae86e6, v12
	v_mul_f32_e32 v13, 0xbf5ff5aa, v5
	v_fma_f32 v25, 0xbf5ff5aa, v5, -v12
	v_fma_f32 v26, 0x3eae86e6, v11, -v13
	s_delay_alu instid0(VALU_DEP_2) | instskip(SKIP_2) | instid1(VALU_DEP_3)
	v_fmac_f32_e32 v25, 0xbee1c552, v22
	v_fmac_f32_e32 v24, 0xbee1c552, v22
	v_add_nc_u32_e32 v18, 0xe00, v50
	v_dual_fmac_f32 v26, 0xbee1c552, v22 :: v_dual_add_f32 v43, v25, v40
	s_delay_alu instid0(VALU_DEP_1) | instskip(SKIP_1) | instid1(VALU_DEP_1)
	v_dual_sub_f32 v25, v40, v25 :: v_dual_sub_f32 v42, v41, v26
	v_dual_add_f32 v26, v26, v41 :: v_dual_add_f32 v39, v1, v10
	v_dual_sub_f32 v22, v39, v24 :: v_dual_add_nc_u32 v1, 0x400, v50
	v_add_f32_e32 v24, v24, v39
	ds_load_2addr_b32 v[4:5], v50 offset1:154
	ds_load_2addr_b32 v[15:16], v1 offset0:52 offset1:206
	ds_load_2addr_b32 v[13:14], v17 offset0:40 offset1:194
	;; [unrolled: 1-line block ×4, first 2 shown]
	global_wb scope:SCOPE_SE
	s_wait_dscnt 0x0
	s_barrier_signal -1
	s_barrier_wait -1
	global_inv scope:SCOPE_SE
	ds_store_2addr_b32 v35, v23, v22 offset1:22
	ds_store_2addr_b32 v35, v42, v43 offset0:44 offset1:66
	ds_store_2addr_b32 v35, v25, v26 offset0:88 offset1:110
	ds_store_b32 v35, v24 offset:528
	s_and_saveexec_b32 s1, s0
	s_cbranch_execz .LBB0_23
; %bb.22:
	v_dual_add_f32 v21, v21, v34 :: v_dual_add_f32 v6, v6, v28
	v_dual_sub_f32 v22, v38, v36 :: v_dual_add_f32 v7, v7, v27
	v_dual_sub_f32 v23, v37, v32 :: v_dual_sub_f32 v24, v31, v30
	s_delay_alu instid0(VALU_DEP_3) | instskip(NEXT) | instid1(VALU_DEP_3)
	v_add_f32_e32 v25, v6, v21
	v_dual_sub_f32 v26, v6, v21 :: v_dual_sub_f32 v21, v21, v7
	s_delay_alu instid0(VALU_DEP_3) | instskip(NEXT) | instid1(VALU_DEP_3)
	v_dual_sub_f32 v6, v7, v6 :: v_dual_add_f32 v27, v24, v23
	v_add_f32_e32 v7, v7, v25
	v_dual_sub_f32 v25, v24, v23 :: v_dual_sub_f32 v24, v22, v24
	s_delay_alu instid0(VALU_DEP_3) | instskip(NEXT) | instid1(VALU_DEP_3)
	v_mul_f32_e32 v28, 0x3d64c772, v6
	v_dual_sub_f32 v23, v23, v22 :: v_dual_add_f32 v8, v8, v7
	v_add_f32_e32 v22, v27, v22
	s_delay_alu instid0(VALU_DEP_3) | instskip(NEXT) | instid1(VALU_DEP_3)
	v_fma_f32 v28, 0x3f3bfb3b, v26, -v28
	v_fmamk_f32 v7, v7, 0xbf955555, v8
	v_mul_f32_e32 v21, 0x3f4a47b2, v21
	s_delay_alu instid0(VALU_DEP_1) | instskip(NEXT) | instid1(VALU_DEP_1)
	v_fmamk_f32 v6, v6, 0x3d64c772, v21
	v_dual_add_f32 v6, v6, v7 :: v_dual_mul_f32 v25, 0x3f08b237, v25
	v_fma_f32 v21, 0xbf3bfb3b, v26, -v21
	s_delay_alu instid0(VALU_DEP_2) | instskip(NEXT) | instid1(VALU_DEP_1)
	v_fmamk_f32 v26, v24, 0xbeae86e6, v25
	v_fmac_f32_e32 v26, 0xbee1c552, v22
	v_and_b32_e32 v27, 0x7f, v29
	v_mul_f32_e32 v29, 0xbf5ff5aa, v23
	v_fma_f32 v23, 0xbf5ff5aa, v23, -v25
	v_add_f32_e32 v25, v28, v7
	v_add_f32_e32 v7, v21, v7
	s_delay_alu instid0(VALU_DEP_3) | instskip(NEXT) | instid1(VALU_DEP_1)
	v_fmac_f32_e32 v23, 0xbee1c552, v22
	v_add_f32_e32 v28, v23, v25
	v_fma_f32 v24, 0x3eae86e6, v24, -v29
	s_delay_alu instid0(VALU_DEP_1) | instskip(SKIP_2) | instid1(VALU_DEP_1)
	v_fmac_f32_e32 v24, 0xbee1c552, v22
	v_sub_f32_e32 v22, v6, v26
	v_mul_lo_u16 v27, 0xbb, v27
	v_lshrrev_b16 v27, 11, v27
	s_delay_alu instid0(VALU_DEP_1) | instskip(NEXT) | instid1(VALU_DEP_1)
	v_and_b32_e32 v27, 0xffff, v27
	v_mul_u32_u24_e32 v21, 0x268, v27
	s_delay_alu instid0(VALU_DEP_1)
	v_add3_u32 v20, 0, v21, v20
	v_sub_f32_e32 v21, v25, v23
	v_sub_f32_e32 v27, v7, v24
	v_dual_add_f32 v7, v24, v7 :: v_dual_add_f32 v6, v26, v6
	ds_store_2addr_b32 v20, v8, v22 offset1:22
	ds_store_2addr_b32 v20, v27, v28 offset0:44 offset1:66
	ds_store_2addr_b32 v20, v21, v7 offset0:88 offset1:110
	ds_store_b32 v20, v6 offset:528
.LBB0_23:
	s_wait_alu 0xfffe
	s_or_b32 exec_lo, exec_lo, s1
	v_dual_mov_b32 v7, 0 :: v_dual_lshlrev_b32 v6, 2, v0
	global_wb scope:SCOPE_SE
	s_wait_dscnt 0x0
	s_barrier_signal -1
	s_barrier_wait -1
	global_inv scope:SCOPE_SE
	v_lshlrev_b64_e32 v[20:21], 3, v[6:7]
	s_delay_alu instid0(VALU_DEP_1) | instskip(SKIP_1) | instid1(VALU_DEP_2)
	v_add_co_u32 v24, s0, s4, v20
	s_wait_alu 0xf1ff
	v_add_co_ci_u32_e64 v25, s0, s5, v21, s0
	s_clause 0x1
	global_load_b128 v[20:23], v[24:25], off offset:1144
	global_load_b128 v[24:27], v[24:25], off offset:1160
	ds_load_2addr_b32 v[28:29], v1 offset0:52 offset1:206
	ds_load_2addr_b32 v[30:31], v17 offset0:40 offset1:194
	;; [unrolled: 1-line block ×4, first 2 shown]
	ds_load_2addr_b32 v[38:39], v50 offset1:154
	global_wb scope:SCOPE_SE
	s_wait_loadcnt_dscnt 0x0
	s_barrier_signal -1
	s_barrier_wait -1
	global_inv scope:SCOPE_SE
	v_mul_f32_e32 v6, v28, v21
	v_dual_mul_f32 v8, v15, v21 :: v_dual_mul_f32 v43, v36, v27
	v_dual_mul_f32 v32, v30, v23 :: v_dual_mul_f32 v45, v29, v21
	;; [unrolled: 1-line block ×3, first 2 shown]
	v_mul_f32_e32 v42, v11, v25
	v_dual_mul_f32 v44, v9, v27 :: v_dual_mul_f32 v21, v16, v21
	v_mul_f32_e32 v46, v31, v23
	v_dual_mul_f32 v47, v35, v25 :: v_dual_mul_f32 v48, v37, v27
	v_mul_f32_e32 v23, v14, v23
	v_mul_f32_e32 v25, v12, v25
	v_dual_mul_f32 v27, v10, v27 :: v_dual_fmac_f32 v6, v15, v20
	v_fmac_f32_e32 v43, v9, v26
	v_dual_fmac_f32 v32, v13, v22 :: v_dual_fmac_f32 v41, v11, v24
	v_fma_f32 v13, v30, v22, -v40
	v_fma_f32 v11, v34, v24, -v42
	v_fma_f32 v9, v36, v26, -v44
	v_dual_fmac_f32 v45, v16, v20 :: v_dual_fmac_f32 v46, v14, v22
	v_dual_fmac_f32 v47, v12, v24 :: v_dual_fmac_f32 v48, v10, v26
	v_fma_f32 v8, v28, v20, -v8
	v_fma_f32 v15, v29, v20, -v21
	;; [unrolled: 1-line block ×5, first 2 shown]
	v_dual_add_f32 v20, v32, v41 :: v_dual_add_f32 v25, v6, v43
	v_dual_sub_f32 v26, v32, v6 :: v_dual_add_f32 v29, v13, v11
	v_dual_sub_f32 v36, v11, v9 :: v_dual_add_f32 v55, v45, v48
	v_dual_add_f32 v37, v5, v45 :: v_dual_add_f32 v40, v46, v47
	v_dual_add_f32 v10, v4, v6 :: v_dual_sub_f32 v23, v6, v32
	v_dual_add_f32 v28, v38, v8 :: v_dual_sub_f32 v31, v8, v13
	v_dual_sub_f32 v21, v8, v9 :: v_dual_sub_f32 v22, v13, v11
	v_dual_sub_f32 v24, v43, v41 :: v_dual_sub_f32 v27, v41, v43
	v_dual_sub_f32 v6, v6, v43 :: v_dual_add_f32 v35, v8, v9
	v_dual_sub_f32 v30, v32, v41 :: v_dual_sub_f32 v49, v45, v46
	v_dual_sub_f32 v34, v9, v11 :: v_dual_sub_f32 v57, v47, v48
	;; [unrolled: 1-line block ×3, first 2 shown]
	v_sub_f32_e32 v42, v15, v16
	v_dual_sub_f32 v54, v48, v47 :: v_dual_add_f32 v59, v14, v12
	v_add_f32_e32 v58, v39, v15
	v_dual_sub_f32 v60, v46, v47 :: v_dual_add_f32 v63, v15, v16
	v_dual_sub_f32 v62, v16, v12 :: v_dual_sub_f32 v15, v14, v15
	v_fma_f32 v20, -0.5, v20, v4
	v_fma_f32 v4, -0.5, v25, v4
	;; [unrolled: 1-line block ×4, first 2 shown]
	v_dual_fmac_f32 v5, -0.5, v55 :: v_dual_sub_f32 v64, v12, v16
	v_dual_sub_f32 v44, v14, v12 :: v_dual_add_f32 v13, v28, v13
	v_dual_sub_f32 v56, v46, v45 :: v_dual_sub_f32 v45, v45, v48
	v_add_f32_e32 v10, v10, v32
	v_dual_add_f32 v28, v37, v46 :: v_dual_add_f32 v23, v23, v24
	v_add_f32_e32 v24, v26, v27
	v_add_f32_e32 v26, v31, v34
	v_fma_f32 v27, -0.5, v35, v38
	v_dual_add_f32 v8, v8, v36 :: v_dual_fmamk_f32 v37, v22, 0x3f737871, v4
	v_fma_f32 v34, -0.5, v59, v39
	v_dual_add_f32 v35, v61, v62 :: v_dual_add_f32 v36, v15, v64
	v_fmamk_f32 v15, v21, 0xbf737871, v20
	v_fmac_f32_e32 v20, 0x3f737871, v21
	v_fmac_f32_e32 v4, 0xbf737871, v22
	v_dual_add_f32 v31, v49, v54 :: v_dual_add_f32 v32, v56, v57
	v_add_f32_e32 v11, v13, v11
	v_dual_fmac_f32 v39, -0.5, v63 :: v_dual_add_f32 v10, v10, v41
	v_dual_fmamk_f32 v41, v44, 0x3f737871, v5 :: v_dual_add_f32 v14, v58, v14
	v_dual_add_f32 v13, v28, v47 :: v_dual_fmamk_f32 v28, v42, 0xbf737871, v29
	v_fmac_f32_e32 v29, 0x3f737871, v42
	v_fmac_f32_e32 v5, 0xbf737871, v44
	v_dual_fmamk_f32 v38, v6, 0x3f737871, v25 :: v_dual_fmamk_f32 v47, v45, 0x3f737871, v34
	v_fmac_f32_e32 v25, 0xbf737871, v6
	v_fmamk_f32 v40, v30, 0xbf737871, v27
	v_fmac_f32_e32 v27, 0x3f737871, v30
	v_fmac_f32_e32 v34, 0xbf737871, v45
	;; [unrolled: 1-line block ×3, first 2 shown]
	v_dual_fmac_f32 v20, 0x3f167918, v22 :: v_dual_fmac_f32 v29, 0x3f167918, v44
	v_dual_fmac_f32 v37, 0xbf167918, v21 :: v_dual_fmac_f32 v28, 0xbf167918, v44
	;; [unrolled: 1-line block ×3, first 2 shown]
	v_dual_fmac_f32 v41, 0xbf167918, v42 :: v_dual_add_f32 v46, v14, v12
	v_fmamk_f32 v49, v60, 0xbf737871, v39
	v_dual_fmac_f32 v39, 0x3f737871, v60 :: v_dual_add_f32 v10, v10, v43
	v_dual_add_f32 v21, v11, v9 :: v_dual_fmac_f32 v38, 0x3f167918, v30
	v_fmac_f32_e32 v47, 0x3f167918, v60
	v_dual_fmac_f32 v25, 0xbf167918, v30 :: v_dual_fmac_f32 v34, 0xbf167918, v60
	v_dual_fmac_f32 v40, 0x3f167918, v6 :: v_dual_fmac_f32 v49, 0x3f167918, v45
	v_dual_fmac_f32 v27, 0xbf167918, v6 :: v_dual_add_f32 v6, v13, v48
	v_dual_fmac_f32 v15, 0x3e9e377a, v23 :: v_dual_fmac_f32 v4, 0x3e9e377a, v24
	v_dual_fmac_f32 v20, 0x3e9e377a, v23 :: v_dual_fmac_f32 v37, 0x3e9e377a, v24
	;; [unrolled: 1-line block ×3, first 2 shown]
	v_fmac_f32_e32 v29, 0x3e9e377a, v31
	v_dual_fmac_f32 v5, 0x3e9e377a, v32 :: v_dual_fmac_f32 v34, 0x3e9e377a, v35
	v_dual_fmac_f32 v25, 0x3e9e377a, v26 :: v_dual_fmac_f32 v40, 0x3e9e377a, v8
	ds_store_2addr_b32 v50, v10, v15 offset1:154
	ds_store_2addr_b32 v1, v37, v4 offset0:52 offset1:206
	ds_store_2addr_b32 v17, v20, v6 offset0:40 offset1:194
	;; [unrolled: 1-line block ×4, first 2 shown]
	global_wb scope:SCOPE_SE
	s_wait_dscnt 0x0
	s_barrier_signal -1
	s_barrier_wait -1
	global_inv scope:SCOPE_SE
	v_add_f32_e32 v6, v46, v16
	v_dual_fmac_f32 v38, 0x3e9e377a, v26 :: v_dual_fmac_f32 v27, 0x3e9e377a, v8
	ds_load_2addr_b32 v[4:5], v50 offset1:154
	ds_load_2addr_b32 v[10:11], v17 offset0:40 offset1:194
	ds_load_2addr_b32 v[12:13], v18 offset0:28 offset1:182
	;; [unrolled: 1-line block ×4, first 2 shown]
	v_fmac_f32_e32 v39, 0xbf167918, v45
	v_fmac_f32_e32 v47, 0x3e9e377a, v35
	;; [unrolled: 1-line block ×3, first 2 shown]
	global_wb scope:SCOPE_SE
	s_wait_dscnt 0x0
	s_barrier_signal -1
	v_fmac_f32_e32 v39, 0x3e9e377a, v36
	s_barrier_wait -1
	global_inv scope:SCOPE_SE
	ds_store_2addr_b32 v50, v21, v38 offset1:154
	ds_store_2addr_b32 v1, v40, v27 offset0:52 offset1:206
	ds_store_2addr_b32 v17, v25, v6 offset0:40 offset1:194
	;; [unrolled: 1-line block ×4, first 2 shown]
	global_wb scope:SCOPE_SE
	s_wait_dscnt 0x0
	s_barrier_signal -1
	s_barrier_wait -1
	global_inv scope:SCOPE_SE
	s_and_saveexec_b32 s0, vcc_lo
	s_cbranch_execz .LBB0_25
; %bb.24:
	v_dual_mov_b32 v1, v7 :: v_dual_add_nc_u32 v28, 0x900, v50
	v_add_nc_u32_e32 v44, 0x302, v0
	v_mad_co_u64_u32 v[26:27], null, s8, v0, 0
	s_delay_alu instid0(VALU_DEP_3) | instskip(SKIP_1) | instid1(VALU_DEP_4)
	v_lshlrev_b64_e32 v[6:7], 3, v[0:1]
	v_mul_hi_u32 v42, 0x551c979b, v33
	v_mad_co_u64_u32 v[38:39], null, s8, v44, 0
	v_add_nc_u32_e32 v45, 0x39c, v0
	v_mul_hi_u32 v46, 0x551c979b, v52
	v_add_co_u32 v6, vcc_lo, s4, v6
	s_wait_alu 0xfffd
	v_add_co_ci_u32_e32 v7, vcc_lo, s5, v7, vcc_lo
	v_add_co_u32 v60, vcc_lo, s10, v2
	v_mad_co_u64_u32 v[1:2], null, s8, v53, 0
	s_clause 0x4
	global_load_b64 v[16:17], v[6:7], off offset:11000
	global_load_b64 v[18:19], v[6:7], off offset:9768
	;; [unrolled: 1-line block ×5, first 2 shown]
	v_mul_hi_u32 v43, 0x551c979b, v51
	v_mad_co_u64_u32 v[40:41], null, s8, v45, 0
	v_add_nc_u32_e32 v30, 0x1200, v50
	s_wait_alu 0xfffd
	v_add_co_ci_u32_e32 v61, vcc_lo, s11, v3, vcc_lo
	v_dual_mov_b32 v3, v27 :: v_dual_add_nc_u32 v32, 0x400, v50
	v_lshrrev_b32_e32 v27, 8, v42
	v_add_nc_u32_e32 v36, 0xe00, v50
	v_lshrrev_b32_e32 v46, 8, v46
	ds_load_2addr_b32 v[24:25], v50 offset1:154
	ds_load_2addr_b32 v[28:29], v28 offset0:40 offset1:194
	ds_load_2addr_b32 v[30:31], v30 offset0:80 offset1:234
	;; [unrolled: 1-line block ×4, first 2 shown]
	v_lshrrev_b32_e32 v32, 8, v43
	v_mad_co_u64_u32 v[42:43], null, s9, v0, v[3:4]
	v_mad_co_u64_u32 v[2:3], null, s9, v53, v[2:3]
	v_dual_mov_b32 v0, v39 :: v_dual_mov_b32 v3, v41
	v_mad_u32_u24 v56, 0x302, v27, v33
	v_mad_u32_u24 v58, 0x302, v46, v52
	v_mov_b32_e32 v27, v42
	v_mad_u32_u24 v57, 0x302, v32, v51
	v_mad_co_u64_u32 v[32:33], null, s9, v44, v[0:1]
	v_mad_co_u64_u32 v[43:44], null, s9, v45, v[3:4]
	;; [unrolled: 1-line block ×4, first 2 shown]
	v_add_nc_u32_e32 v59, 0x302, v56
	v_mad_co_u64_u32 v[46:47], null, s8, v57, 0
	v_dual_mov_b32 v41, v43 :: v_dual_add_nc_u32 v62, 0x302, v57
	v_add_nc_u32_e32 v63, 0x302, v58
	v_lshlrev_b64_e32 v[0:1], 3, v[1:2]
	v_mov_b32_e32 v2, v45
	v_mad_co_u64_u32 v[50:51], null, s8, v59, 0
	v_mad_co_u64_u32 v[52:53], null, s8, v62, 0
	v_dual_mov_b32 v39, v32 :: v_dual_mov_b32 v32, v49
	v_mad_co_u64_u32 v[54:55], null, s8, v63, 0
	v_mov_b32_e32 v3, v47
	v_lshlrev_b64_e32 v[26:27], 3, v[26:27]
	s_delay_alu instid0(VALU_DEP_4) | instskip(SKIP_1) | instid1(VALU_DEP_4)
	v_mad_co_u64_u32 v[32:33], null, s9, v58, v[32:33]
	v_lshlrev_b64_e32 v[38:39], 3, v[38:39]
	v_mad_co_u64_u32 v[42:43], null, s9, v56, v[2:3]
	v_mov_b32_e32 v2, v51
	v_mad_co_u64_u32 v[56:57], null, s9, v57, v[3:4]
	v_mov_b32_e32 v3, v53
	v_mov_b32_e32 v33, v55
	;; [unrolled: 1-line block ×4, first 2 shown]
	v_add_co_u32 v26, vcc_lo, v60, v26
	v_mad_co_u64_u32 v[57:58], null, s9, v59, v[2:3]
	s_wait_dscnt 0x1
	v_mad_co_u64_u32 v[58:59], null, s9, v63, v[33:34]
	v_lshlrev_b64_e32 v[42:43], 3, v[48:49]
	s_wait_alu 0xfffd
	v_add_co_ci_u32_e32 v27, vcc_lo, v61, v27, vcc_lo
	v_lshlrev_b64_e32 v[40:41], 3, v[40:41]
	v_mov_b32_e32 v51, v57
	v_add_co_u32 v0, vcc_lo, v60, v0
	v_mov_b32_e32 v55, v58
	s_wait_alu 0xfffd
	v_add_co_ci_u32_e32 v1, vcc_lo, v61, v1, vcc_lo
	v_add_co_u32 v38, vcc_lo, v60, v38
	s_delay_alu instid0(VALU_DEP_3)
	v_lshlrev_b64_e32 v[48:49], 3, v[54:55]
	s_wait_alu 0xfffd
	v_add_co_ci_u32_e32 v39, vcc_lo, v61, v39, vcc_lo
	v_add_co_u32 v40, vcc_lo, v60, v40
	s_wait_alu 0xfffd
	v_add_co_ci_u32_e32 v41, vcc_lo, v61, v41, vcc_lo
	s_wait_loadcnt 0x0
	v_mul_f32_e32 v54, v11, v7
	v_lshlrev_b64_e32 v[32:33], 3, v[44:45]
	v_lshlrev_b64_e32 v[44:45], 3, v[50:51]
	v_mul_f32_e32 v50, v15, v17
	v_mad_co_u64_u32 v[2:3], null, s9, v62, v[3:4]
	v_mul_f32_e32 v17, v31, v17
	v_mul_f32_e32 v51, v14, v19
	v_mul_f32_e32 v19, v30, v19
	v_mul_f32_e32 v55, v29, v7
	v_add_co_u32 v32, vcc_lo, v60, v32
	v_fmac_f32_e32 v17, v15, v16
	v_mov_b32_e32 v47, v56
	v_mov_b32_e32 v53, v2
	v_fma_f32 v15, v30, v18, -v51
	v_fmac_f32_e32 v19, v14, v18
	v_fma_f32 v18, v29, v6, -v54
	v_dual_fmac_f32 v55, v11, v6 :: v_dual_sub_f32 v6, v10, v17
	v_lshlrev_b64_e32 v[2:3], 3, v[46:47]
	v_lshlrev_b64_e32 v[46:47], 3, v[52:53]
	v_mul_f32_e32 v53, v12, v23
	s_wait_dscnt 0x0
	v_dual_mul_f32 v23, v36, v23 :: v_dual_mul_f32 v52, v13, v21
	v_mul_f32_e32 v21, v37, v21
	s_wait_alu 0xfffd
	v_add_co_ci_u32_e32 v33, vcc_lo, v61, v33, vcc_lo
	v_add_co_u32 v2, vcc_lo, v60, v2
	v_fma_f32 v7, v31, v16, -v50
	v_fma_f32 v16, v36, v22, -v53
	v_fmac_f32_e32 v23, v12, v22
	s_wait_alu 0xfffd
	v_add_co_ci_u32_e32 v3, vcc_lo, v61, v3, vcc_lo
	v_add_co_u32 v42, vcc_lo, v60, v42
	v_sub_f32_e32 v16, v25, v16
	v_fma_f32 v14, v37, v20, -v52
	v_dual_fmac_f32 v21, v13, v20 :: v_dual_sub_f32 v18, v24, v18
	v_sub_f32_e32 v17, v4, v55
	s_wait_alu 0xfffd
	v_add_co_ci_u32_e32 v43, vcc_lo, v61, v43, vcc_lo
	v_add_co_u32 v44, vcc_lo, v60, v44
	v_sub_f32_e32 v12, v35, v15
	v_sub_f32_e32 v15, v5, v23
	s_wait_alu 0xfffd
	v_add_co_ci_u32_e32 v45, vcc_lo, v61, v45, vcc_lo
	v_dual_sub_f32 v14, v34, v14 :: v_dual_sub_f32 v13, v8, v21
	v_add_co_u32 v46, vcc_lo, v60, v46
	v_sub_f32_e32 v7, v28, v7
	v_sub_f32_e32 v11, v9, v19
	v_fma_f32 v22, v24, 2.0, -v18
	v_fma_f32 v21, v4, 2.0, -v17
	s_wait_alu 0xfffd
	v_add_co_ci_u32_e32 v47, vcc_lo, v61, v47, vcc_lo
	v_fma_f32 v24, v25, 2.0, -v16
	v_fma_f32 v23, v5, 2.0, -v15
	v_add_co_u32 v48, vcc_lo, v60, v48
	v_fma_f32 v5, v34, 2.0, -v14
	v_fma_f32 v4, v8, 2.0, -v13
	s_wait_alu 0xfffd
	v_add_co_ci_u32_e32 v49, vcc_lo, v61, v49, vcc_lo
	v_fma_f32 v20, v28, 2.0, -v7
	v_fma_f32 v19, v10, 2.0, -v6
	;; [unrolled: 1-line block ×4, first 2 shown]
	s_clause 0x9
	global_store_b64 v[26:27], v[21:22], off
	global_store_b64 v[38:39], v[17:18], off
	;; [unrolled: 1-line block ×10, first 2 shown]
.LBB0_25:
	s_nop 0
	s_sendmsg sendmsg(MSG_DEALLOC_VGPRS)
	s_endpgm
	.section	.rodata,"a",@progbits
	.p2align	6, 0x0
	.amdhsa_kernel fft_rtc_back_len1540_factors_11_2_7_5_2_wgs_154_tpt_154_halfLds_sp_ip_CI_sbrr_dirReg
		.amdhsa_group_segment_fixed_size 0
		.amdhsa_private_segment_fixed_size 0
		.amdhsa_kernarg_size 88
		.amdhsa_user_sgpr_count 2
		.amdhsa_user_sgpr_dispatch_ptr 0
		.amdhsa_user_sgpr_queue_ptr 0
		.amdhsa_user_sgpr_kernarg_segment_ptr 1
		.amdhsa_user_sgpr_dispatch_id 0
		.amdhsa_user_sgpr_private_segment_size 0
		.amdhsa_wavefront_size32 1
		.amdhsa_uses_dynamic_stack 0
		.amdhsa_enable_private_segment 0
		.amdhsa_system_sgpr_workgroup_id_x 1
		.amdhsa_system_sgpr_workgroup_id_y 0
		.amdhsa_system_sgpr_workgroup_id_z 0
		.amdhsa_system_sgpr_workgroup_info 0
		.amdhsa_system_vgpr_workitem_id 0
		.amdhsa_next_free_vgpr 70
		.amdhsa_next_free_sgpr 35
		.amdhsa_reserve_vcc 1
		.amdhsa_float_round_mode_32 0
		.amdhsa_float_round_mode_16_64 0
		.amdhsa_float_denorm_mode_32 3
		.amdhsa_float_denorm_mode_16_64 3
		.amdhsa_fp16_overflow 0
		.amdhsa_workgroup_processor_mode 1
		.amdhsa_memory_ordered 1
		.amdhsa_forward_progress 0
		.amdhsa_round_robin_scheduling 0
		.amdhsa_exception_fp_ieee_invalid_op 0
		.amdhsa_exception_fp_denorm_src 0
		.amdhsa_exception_fp_ieee_div_zero 0
		.amdhsa_exception_fp_ieee_overflow 0
		.amdhsa_exception_fp_ieee_underflow 0
		.amdhsa_exception_fp_ieee_inexact 0
		.amdhsa_exception_int_div_zero 0
	.end_amdhsa_kernel
	.text
.Lfunc_end0:
	.size	fft_rtc_back_len1540_factors_11_2_7_5_2_wgs_154_tpt_154_halfLds_sp_ip_CI_sbrr_dirReg, .Lfunc_end0-fft_rtc_back_len1540_factors_11_2_7_5_2_wgs_154_tpt_154_halfLds_sp_ip_CI_sbrr_dirReg
                                        ; -- End function
	.section	.AMDGPU.csdata,"",@progbits
; Kernel info:
; codeLenInByte = 10136
; NumSgprs: 37
; NumVgprs: 70
; ScratchSize: 0
; MemoryBound: 0
; FloatMode: 240
; IeeeMode: 1
; LDSByteSize: 0 bytes/workgroup (compile time only)
; SGPRBlocks: 4
; VGPRBlocks: 8
; NumSGPRsForWavesPerEU: 37
; NumVGPRsForWavesPerEU: 70
; Occupancy: 15
; WaveLimiterHint : 1
; COMPUTE_PGM_RSRC2:SCRATCH_EN: 0
; COMPUTE_PGM_RSRC2:USER_SGPR: 2
; COMPUTE_PGM_RSRC2:TRAP_HANDLER: 0
; COMPUTE_PGM_RSRC2:TGID_X_EN: 1
; COMPUTE_PGM_RSRC2:TGID_Y_EN: 0
; COMPUTE_PGM_RSRC2:TGID_Z_EN: 0
; COMPUTE_PGM_RSRC2:TIDIG_COMP_CNT: 0
	.text
	.p2alignl 7, 3214868480
	.fill 96, 4, 3214868480
	.type	__hip_cuid_85e920511eebfde2,@object ; @__hip_cuid_85e920511eebfde2
	.section	.bss,"aw",@nobits
	.globl	__hip_cuid_85e920511eebfde2
__hip_cuid_85e920511eebfde2:
	.byte	0                               ; 0x0
	.size	__hip_cuid_85e920511eebfde2, 1

	.ident	"AMD clang version 19.0.0git (https://github.com/RadeonOpenCompute/llvm-project roc-6.4.0 25133 c7fe45cf4b819c5991fe208aaa96edf142730f1d)"
	.section	".note.GNU-stack","",@progbits
	.addrsig
	.addrsig_sym __hip_cuid_85e920511eebfde2
	.amdgpu_metadata
---
amdhsa.kernels:
  - .args:
      - .actual_access:  read_only
        .address_space:  global
        .offset:         0
        .size:           8
        .value_kind:     global_buffer
      - .offset:         8
        .size:           8
        .value_kind:     by_value
      - .actual_access:  read_only
        .address_space:  global
        .offset:         16
        .size:           8
        .value_kind:     global_buffer
      - .actual_access:  read_only
        .address_space:  global
        .offset:         24
        .size:           8
        .value_kind:     global_buffer
      - .offset:         32
        .size:           8
        .value_kind:     by_value
      - .actual_access:  read_only
        .address_space:  global
        .offset:         40
        .size:           8
        .value_kind:     global_buffer
      - .actual_access:  read_only
        .address_space:  global
        .offset:         48
        .size:           8
        .value_kind:     global_buffer
      - .offset:         56
        .size:           4
        .value_kind:     by_value
      - .actual_access:  read_only
        .address_space:  global
        .offset:         64
        .size:           8
        .value_kind:     global_buffer
      - .actual_access:  read_only
        .address_space:  global
        .offset:         72
        .size:           8
        .value_kind:     global_buffer
      - .address_space:  global
        .offset:         80
        .size:           8
        .value_kind:     global_buffer
    .group_segment_fixed_size: 0
    .kernarg_segment_align: 8
    .kernarg_segment_size: 88
    .language:       OpenCL C
    .language_version:
      - 2
      - 0
    .max_flat_workgroup_size: 154
    .name:           fft_rtc_back_len1540_factors_11_2_7_5_2_wgs_154_tpt_154_halfLds_sp_ip_CI_sbrr_dirReg
    .private_segment_fixed_size: 0
    .sgpr_count:     37
    .sgpr_spill_count: 0
    .symbol:         fft_rtc_back_len1540_factors_11_2_7_5_2_wgs_154_tpt_154_halfLds_sp_ip_CI_sbrr_dirReg.kd
    .uniform_work_group_size: 1
    .uses_dynamic_stack: false
    .vgpr_count:     70
    .vgpr_spill_count: 0
    .wavefront_size: 32
    .workgroup_processor_mode: 1
amdhsa.target:   amdgcn-amd-amdhsa--gfx1201
amdhsa.version:
  - 1
  - 2
...

	.end_amdgpu_metadata
